;; amdgpu-corpus repo=ROCm/rocFFT kind=compiled arch=gfx1030 opt=O3
	.text
	.amdgcn_target "amdgcn-amd-amdhsa--gfx1030"
	.amdhsa_code_object_version 6
	.protected	fft_rtc_back_len2160_factors_10_6_6_6_wgs_60_tpt_60_halfLds_sp_op_CI_CI_unitstride_sbrr_dirReg ; -- Begin function fft_rtc_back_len2160_factors_10_6_6_6_wgs_60_tpt_60_halfLds_sp_op_CI_CI_unitstride_sbrr_dirReg
	.globl	fft_rtc_back_len2160_factors_10_6_6_6_wgs_60_tpt_60_halfLds_sp_op_CI_CI_unitstride_sbrr_dirReg
	.p2align	8
	.type	fft_rtc_back_len2160_factors_10_6_6_6_wgs_60_tpt_60_halfLds_sp_op_CI_CI_unitstride_sbrr_dirReg,@function
fft_rtc_back_len2160_factors_10_6_6_6_wgs_60_tpt_60_halfLds_sp_op_CI_CI_unitstride_sbrr_dirReg: ; @fft_rtc_back_len2160_factors_10_6_6_6_wgs_60_tpt_60_halfLds_sp_op_CI_CI_unitstride_sbrr_dirReg
; %bb.0:
	s_clause 0x2
	s_load_dwordx4 s[12:15], s[4:5], 0x0
	s_load_dwordx4 s[8:11], s[4:5], 0x58
	;; [unrolled: 1-line block ×3, first 2 shown]
	v_mul_u32_u24_e32 v2, 0x445, v0
	v_mov_b32_e32 v1, 0
	v_mov_b32_e32 v84, 0
	;; [unrolled: 1-line block ×3, first 2 shown]
	v_add_nc_u32_sdwa v8, s6, v2 dst_sel:DWORD dst_unused:UNUSED_PAD src0_sel:DWORD src1_sel:WORD_1
	v_mov_b32_e32 v9, v1
	s_waitcnt lgkmcnt(0)
	v_cmp_lt_u64_e64 s0, s[14:15], 2
	s_and_b32 vcc_lo, exec_lo, s0
	s_cbranch_vccnz .LBB0_8
; %bb.1:
	s_load_dwordx2 s[0:1], s[4:5], 0x10
	v_mov_b32_e32 v84, 0
	v_mov_b32_e32 v85, 0
	s_add_u32 s2, s18, 8
	s_addc_u32 s3, s19, 0
	v_mov_b32_e32 v4, v84
	s_add_u32 s6, s16, 8
	v_mov_b32_e32 v5, v85
	s_addc_u32 s7, s17, 0
	s_mov_b64 s[22:23], 1
	s_waitcnt lgkmcnt(0)
	s_add_u32 s20, s0, 8
	s_addc_u32 s21, s1, 0
.LBB0_2:                                ; =>This Inner Loop Header: Depth=1
	s_load_dwordx2 s[24:25], s[20:21], 0x0
                                        ; implicit-def: $vgpr6_vgpr7
	s_mov_b32 s0, exec_lo
	s_waitcnt lgkmcnt(0)
	v_or_b32_e32 v2, s25, v9
	v_cmpx_ne_u64_e32 0, v[1:2]
	s_xor_b32 s1, exec_lo, s0
	s_cbranch_execz .LBB0_4
; %bb.3:                                ;   in Loop: Header=BB0_2 Depth=1
	v_cvt_f32_u32_e32 v2, s24
	v_cvt_f32_u32_e32 v3, s25
	s_sub_u32 s0, 0, s24
	s_subb_u32 s26, 0, s25
	v_fmac_f32_e32 v2, 0x4f800000, v3
	v_rcp_f32_e32 v2, v2
	v_mul_f32_e32 v2, 0x5f7ffffc, v2
	v_mul_f32_e32 v3, 0x2f800000, v2
	v_trunc_f32_e32 v3, v3
	v_fmac_f32_e32 v2, 0xcf800000, v3
	v_cvt_u32_f32_e32 v3, v3
	v_cvt_u32_f32_e32 v2, v2
	v_mul_lo_u32 v6, s0, v3
	v_mul_hi_u32 v7, s0, v2
	v_mul_lo_u32 v10, s26, v2
	v_add_nc_u32_e32 v6, v7, v6
	v_mul_lo_u32 v7, s0, v2
	v_add_nc_u32_e32 v6, v6, v10
	v_mul_hi_u32 v10, v2, v7
	v_mul_lo_u32 v11, v2, v6
	v_mul_hi_u32 v12, v2, v6
	v_mul_hi_u32 v13, v3, v7
	v_mul_lo_u32 v7, v3, v7
	v_mul_hi_u32 v14, v3, v6
	v_mul_lo_u32 v6, v3, v6
	v_add_co_u32 v10, vcc_lo, v10, v11
	v_add_co_ci_u32_e32 v11, vcc_lo, 0, v12, vcc_lo
	v_add_co_u32 v7, vcc_lo, v10, v7
	v_add_co_ci_u32_e32 v7, vcc_lo, v11, v13, vcc_lo
	v_add_co_ci_u32_e32 v10, vcc_lo, 0, v14, vcc_lo
	v_add_co_u32 v6, vcc_lo, v7, v6
	v_add_co_ci_u32_e32 v7, vcc_lo, 0, v10, vcc_lo
	v_add_co_u32 v2, vcc_lo, v2, v6
	v_add_co_ci_u32_e32 v3, vcc_lo, v3, v7, vcc_lo
	v_mul_hi_u32 v6, s0, v2
	v_mul_lo_u32 v10, s26, v2
	v_mul_lo_u32 v7, s0, v3
	v_add_nc_u32_e32 v6, v6, v7
	v_mul_lo_u32 v7, s0, v2
	v_add_nc_u32_e32 v6, v6, v10
	v_mul_hi_u32 v10, v2, v7
	v_mul_lo_u32 v11, v2, v6
	v_mul_hi_u32 v12, v2, v6
	v_mul_hi_u32 v13, v3, v7
	v_mul_lo_u32 v7, v3, v7
	v_mul_hi_u32 v14, v3, v6
	v_mul_lo_u32 v6, v3, v6
	v_add_co_u32 v10, vcc_lo, v10, v11
	v_add_co_ci_u32_e32 v11, vcc_lo, 0, v12, vcc_lo
	v_add_co_u32 v7, vcc_lo, v10, v7
	v_add_co_ci_u32_e32 v7, vcc_lo, v11, v13, vcc_lo
	v_add_co_ci_u32_e32 v10, vcc_lo, 0, v14, vcc_lo
	v_add_co_u32 v6, vcc_lo, v7, v6
	v_add_co_ci_u32_e32 v7, vcc_lo, 0, v10, vcc_lo
	v_add_co_u32 v6, vcc_lo, v2, v6
	v_add_co_ci_u32_e32 v10, vcc_lo, v3, v7, vcc_lo
	v_mul_hi_u32 v12, v8, v6
	v_mad_u64_u32 v[6:7], null, v9, v6, 0
	v_mad_u64_u32 v[2:3], null, v8, v10, 0
	;; [unrolled: 1-line block ×3, first 2 shown]
	v_add_co_u32 v2, vcc_lo, v12, v2
	v_add_co_ci_u32_e32 v3, vcc_lo, 0, v3, vcc_lo
	v_add_co_u32 v2, vcc_lo, v2, v6
	v_add_co_ci_u32_e32 v2, vcc_lo, v3, v7, vcc_lo
	v_add_co_ci_u32_e32 v3, vcc_lo, 0, v11, vcc_lo
	v_add_co_u32 v6, vcc_lo, v2, v10
	v_add_co_ci_u32_e32 v7, vcc_lo, 0, v3, vcc_lo
	v_mul_lo_u32 v10, s25, v6
	v_mad_u64_u32 v[2:3], null, s24, v6, 0
	v_mul_lo_u32 v11, s24, v7
	v_sub_co_u32 v2, vcc_lo, v8, v2
	v_add3_u32 v3, v3, v11, v10
	v_sub_nc_u32_e32 v10, v9, v3
	v_subrev_co_ci_u32_e64 v10, s0, s25, v10, vcc_lo
	v_add_co_u32 v11, s0, v6, 2
	v_add_co_ci_u32_e64 v12, s0, 0, v7, s0
	v_sub_co_u32 v13, s0, v2, s24
	v_sub_co_ci_u32_e32 v3, vcc_lo, v9, v3, vcc_lo
	v_subrev_co_ci_u32_e64 v10, s0, 0, v10, s0
	v_cmp_le_u32_e32 vcc_lo, s24, v13
	v_cmp_eq_u32_e64 s0, s25, v3
	v_cndmask_b32_e64 v13, 0, -1, vcc_lo
	v_cmp_le_u32_e32 vcc_lo, s25, v10
	v_cndmask_b32_e64 v14, 0, -1, vcc_lo
	v_cmp_le_u32_e32 vcc_lo, s24, v2
	;; [unrolled: 2-line block ×3, first 2 shown]
	v_cndmask_b32_e64 v15, 0, -1, vcc_lo
	v_cmp_eq_u32_e32 vcc_lo, s25, v10
	v_cndmask_b32_e64 v2, v15, v2, s0
	v_cndmask_b32_e32 v10, v14, v13, vcc_lo
	v_add_co_u32 v13, vcc_lo, v6, 1
	v_add_co_ci_u32_e32 v14, vcc_lo, 0, v7, vcc_lo
	v_cmp_ne_u32_e32 vcc_lo, 0, v10
	v_cndmask_b32_e32 v3, v14, v12, vcc_lo
	v_cndmask_b32_e32 v10, v13, v11, vcc_lo
	v_cmp_ne_u32_e32 vcc_lo, 0, v2
	v_cndmask_b32_e32 v7, v7, v3, vcc_lo
	v_cndmask_b32_e32 v6, v6, v10, vcc_lo
.LBB0_4:                                ;   in Loop: Header=BB0_2 Depth=1
	s_andn2_saveexec_b32 s0, s1
	s_cbranch_execz .LBB0_6
; %bb.5:                                ;   in Loop: Header=BB0_2 Depth=1
	v_cvt_f32_u32_e32 v2, s24
	s_sub_i32 s1, 0, s24
	v_rcp_iflag_f32_e32 v2, v2
	v_mul_f32_e32 v2, 0x4f7ffffe, v2
	v_cvt_u32_f32_e32 v2, v2
	v_mul_lo_u32 v3, s1, v2
	v_mul_hi_u32 v3, v2, v3
	v_add_nc_u32_e32 v2, v2, v3
	v_mul_hi_u32 v2, v8, v2
	v_mul_lo_u32 v3, v2, s24
	v_add_nc_u32_e32 v6, 1, v2
	v_sub_nc_u32_e32 v3, v8, v3
	v_subrev_nc_u32_e32 v7, s24, v3
	v_cmp_le_u32_e32 vcc_lo, s24, v3
	v_cndmask_b32_e32 v3, v3, v7, vcc_lo
	v_cndmask_b32_e32 v2, v2, v6, vcc_lo
	v_mov_b32_e32 v7, v1
	v_cmp_le_u32_e32 vcc_lo, s24, v3
	v_add_nc_u32_e32 v6, 1, v2
	v_cndmask_b32_e32 v6, v2, v6, vcc_lo
.LBB0_6:                                ;   in Loop: Header=BB0_2 Depth=1
	s_or_b32 exec_lo, exec_lo, s0
	v_mul_lo_u32 v10, v7, s24
	v_mul_lo_u32 v11, v6, s25
	s_load_dwordx2 s[0:1], s[6:7], 0x0
	v_mad_u64_u32 v[2:3], null, v6, s24, 0
	s_load_dwordx2 s[24:25], s[2:3], 0x0
	s_add_u32 s22, s22, 1
	s_addc_u32 s23, s23, 0
	s_add_u32 s2, s2, 8
	s_addc_u32 s3, s3, 0
	s_add_u32 s6, s6, 8
	v_add3_u32 v3, v3, v11, v10
	v_sub_co_u32 v2, vcc_lo, v8, v2
	s_addc_u32 s7, s7, 0
	s_add_u32 s20, s20, 8
	v_sub_co_ci_u32_e32 v3, vcc_lo, v9, v3, vcc_lo
	s_addc_u32 s21, s21, 0
	s_waitcnt lgkmcnt(0)
	v_mul_lo_u32 v8, s0, v3
	v_mul_lo_u32 v9, s1, v2
	v_mad_u64_u32 v[84:85], null, s0, v2, v[84:85]
	v_mul_lo_u32 v3, s24, v3
	v_mul_lo_u32 v10, s25, v2
	v_mad_u64_u32 v[4:5], null, s24, v2, v[4:5]
	v_cmp_ge_u64_e64 s0, s[22:23], s[14:15]
	v_add3_u32 v85, v9, v85, v8
	v_add3_u32 v5, v10, v5, v3
	s_and_b32 vcc_lo, exec_lo, s0
	s_cbranch_vccnz .LBB0_9
; %bb.7:                                ;   in Loop: Header=BB0_2 Depth=1
	v_mov_b32_e32 v9, v7
	v_mov_b32_e32 v8, v6
	s_branch .LBB0_2
.LBB0_8:
	v_mov_b32_e32 v4, v84
	v_mov_b32_e32 v6, v8
	;; [unrolled: 1-line block ×4, first 2 shown]
.LBB0_9:
	s_load_dwordx2 s[0:1], s[4:5], 0x28
	v_mul_hi_u32 v2, 0x4444445, v0
	s_lshl_b64 s[4:5], s[14:15], 3
                                        ; implicit-def: $vgpr102
	s_add_u32 s2, s18, s4
	s_addc_u32 s3, s19, s5
	s_waitcnt lgkmcnt(0)
	v_cmp_gt_u64_e32 vcc_lo, s[0:1], v[6:7]
	v_cmp_le_u64_e64 s0, s[0:1], v[6:7]
	s_and_saveexec_b32 s1, s0
	s_xor_b32 s0, exec_lo, s1
; %bb.10:
	v_mul_u32_u24_e32 v1, 60, v2
                                        ; implicit-def: $vgpr2
                                        ; implicit-def: $vgpr84_vgpr85
	v_sub_nc_u32_e32 v102, v0, v1
                                        ; implicit-def: $vgpr0
; %bb.11:
	s_or_saveexec_b32 s1, s0
	s_load_dwordx2 s[2:3], s[2:3], 0x0
                                        ; implicit-def: $vgpr11
                                        ; implicit-def: $vgpr23
                                        ; implicit-def: $vgpr17
                                        ; implicit-def: $vgpr21
                                        ; implicit-def: $vgpr13
                                        ; implicit-def: $vgpr19
                                        ; implicit-def: $vgpr9
                                        ; implicit-def: $vgpr15
                                        ; implicit-def: $vgpr3
                                        ; implicit-def: $vgpr1
                                        ; implicit-def: $vgpr33
                                        ; implicit-def: $vgpr39
                                        ; implicit-def: $vgpr29
                                        ; implicit-def: $vgpr37
                                        ; implicit-def: $vgpr35
                                        ; implicit-def: $vgpr45
                                        ; implicit-def: $vgpr41
                                        ; implicit-def: $vgpr43
                                        ; implicit-def: $vgpr27
                                        ; implicit-def: $vgpr25
                                        ; implicit-def: $vgpr51
                                        ; implicit-def: $vgpr53
                                        ; implicit-def: $vgpr55
                                        ; implicit-def: $vgpr65
                                        ; implicit-def: $vgpr63
                                        ; implicit-def: $vgpr49
                                        ; implicit-def: $vgpr61
                                        ; implicit-def: $vgpr59
                                        ; implicit-def: $vgpr47
                                        ; implicit-def: $vgpr31
                                        ; implicit-def: $vgpr75
                                        ; implicit-def: $vgpr69
                                        ; implicit-def: $vgpr67
                                        ; implicit-def: $vgpr83
                                        ; implicit-def: $vgpr79
                                        ; implicit-def: $vgpr77
                                        ; implicit-def: $vgpr81
                                        ; implicit-def: $vgpr73
                                        ; implicit-def: $vgpr71
                                        ; implicit-def: $vgpr57
	s_xor_b32 exec_lo, exec_lo, s1
	s_cbranch_execz .LBB0_15
; %bb.12:
	s_add_u32 s4, s16, s4
	s_addc_u32 s5, s17, s5
                                        ; implicit-def: $vgpr14
                                        ; implicit-def: $vgpr18
                                        ; implicit-def: $vgpr12
                                        ; implicit-def: $vgpr20
                                        ; implicit-def: $vgpr16
                                        ; implicit-def: $vgpr22
                                        ; implicit-def: $vgpr10
	s_load_dwordx2 s[4:5], s[4:5], 0x0
	s_waitcnt lgkmcnt(0)
	v_mul_lo_u32 v1, s5, v6
	v_mul_lo_u32 v3, s4, v7
	v_mad_u64_u32 v[8:9], null, s4, v6, 0
	s_mov_b32 s4, exec_lo
	v_add3_u32 v9, v9, v3, v1
	v_mul_u32_u24_e32 v3, 60, v2
	v_lshlrev_b64 v[1:2], 3, v[8:9]
	v_sub_nc_u32_e32 v102, v0, v3
	v_lshlrev_b64 v[8:9], 3, v[84:85]
	v_add_co_u32 v0, s0, s8, v1
	v_add_co_ci_u32_e64 v1, s0, s9, v2, s0
	v_lshlrev_b32_e32 v2, 3, v102
	v_add_co_u32 v3, s0, v0, v8
	v_add_co_ci_u32_e64 v8, s0, v1, v9, s0
	v_or_b32_e32 v0, 0x3600, v2
	v_add_co_u32 v92, s0, v3, v2
	v_add_co_ci_u32_e64 v93, s0, 0, v8, s0
	v_add_co_u32 v0, s0, v3, v0
	v_add_co_ci_u32_e64 v1, s0, 0, v8, s0
	;; [unrolled: 2-line block ×7, first 2 shown]
	v_add_co_u32 v84, s0, 0x3800, v92
	s_clause 0x5
	global_load_dwordx2 v[56:57], v[92:93], off
	global_load_dwordx2 v[30:31], v[92:93], off offset:480
	global_load_dwordx2 v[66:67], v[86:87], off offset:1856
	global_load_dwordx2 v[68:69], v[0:1], off
	global_load_dwordx2 v[46:47], v[96:97], off offset:160
	global_load_dwordx2 v[48:49], v[90:91], off offset:1248
	v_or_b32_e32 v0, 0x1800, v2
	v_add_co_ci_u32_e64 v85, s0, 0, v93, s0
	v_add_co_u32 v98, s0, 0x3000, v92
	v_add_co_ci_u32_e64 v99, s0, 0, v93, s0
	v_add_co_u32 v0, s0, v3, v0
	;; [unrolled: 2-line block ×3, first 2 shown]
	s_clause 0x8
	global_load_dwordx2 v[52:53], v[98:99], off offset:2016
	global_load_dwordx2 v[28:29], v[98:99], off offset:768
	global_load_dwordx2 v[54:55], v[98:99], off offset:288
	global_load_dwordx2 v[50:51], v[84:85], off offset:1696
	global_load_dwordx2 v[70:71], v[92:93], off offset:1728
	global_load_dwordx2 v[24:25], v[92:93], off offset:960
	global_load_dwordx2 v[58:59], v[96:97], off offset:1888
	global_load_dwordx2 v[72:73], v[96:97], off offset:1408
	global_load_dwordx2 v[26:27], v[96:97], off offset:640
	v_add_co_ci_u32_e64 v101, s0, 0, v93, s0
	s_clause 0xe
	global_load_dwordx2 v[76:77], v[90:91], off offset:768
	global_load_dwordx2 v[60:61], v[94:95], off offset:1568
	;; [unrolled: 1-line block ×13, first 2 shown]
	global_load_dwordx2 v[40:41], v[0:1], off
	global_load_dwordx2 v[32:33], v[100:101], off offset:128
                                        ; implicit-def: $vgpr0
                                        ; implicit-def: $vgpr2
                                        ; implicit-def: $vgpr8
	v_cmpx_gt_u32_e32 36, v102
; %bb.13:
	s_clause 0x9
	global_load_dwordx2 v[0:1], v[92:93], off offset:1440
	global_load_dwordx2 v[2:3], v[96:97], off offset:1120
	global_load_dwordx2 v[14:15], v[94:95], off offset:800
	global_load_dwordx2 v[8:9], v[90:91], off offset:480
	global_load_dwordx2 v[18:19], v[88:89], off offset:160
	global_load_dwordx2 v[12:13], v[88:89], off offset:1888
	global_load_dwordx2 v[20:21], v[86:87], off offset:1568
	global_load_dwordx2 v[22:23], v[84:85], off offset:928
	global_load_dwordx2 v[16:17], v[98:99], off offset:1248
	global_load_dwordx2 v[10:11], v[100:101], off offset:608
; %bb.14:
	s_or_b32 exec_lo, exec_lo, s4
.LBB0_15:
	s_or_b32 exec_lo, exec_lo, s1
	s_waitcnt vmcnt(5)
	v_add_f32_e32 v84, v82, v76
	v_add_f32_e32 v85, v72, v56
	v_sub_f32_e32 v86, v73, v69
	v_sub_f32_e32 v87, v77, v83
	;; [unrolled: 1-line block ×3, first 2 shown]
	v_fma_f32 v88, -0.5, v84, v56
	v_sub_f32_e32 v84, v72, v76
	v_add_f32_e32 v91, v68, v72
	v_add_f32_e32 v85, v76, v85
	s_waitcnt vmcnt(3)
	v_sub_f32_e32 v93, v81, v75
	v_fmamk_f32 v89, v86, 0xbf737871, v88
	v_fmac_f32_e32 v88, 0x3f737871, v86
	v_add_f32_e32 v84, v90, v84
	v_fmac_f32_e32 v56, -0.5, v91
	v_add_f32_e32 v85, v82, v85
	v_fmac_f32_e32 v89, 0xbf167918, v87
	v_fmac_f32_e32 v88, 0x3f167918, v87
	v_sub_f32_e32 v90, v76, v72
	v_fmamk_f32 v91, v87, 0x3f737871, v56
	v_add_f32_e32 v92, v68, v85
	v_fmac_f32_e32 v89, 0x3e9e377a, v84
	v_fmac_f32_e32 v88, 0x3e9e377a, v84
	v_sub_f32_e32 v84, v82, v68
	v_fmac_f32_e32 v56, 0xbf737871, v87
	v_add_f32_e32 v85, v80, v70
	v_add_f32_e32 v87, v66, v78
	v_fmac_f32_e32 v91, 0xbf167918, v86
	v_add_f32_e32 v90, v84, v90
	v_fmac_f32_e32 v56, 0x3f167918, v86
	v_add_f32_e32 v85, v78, v85
	v_fma_f32 v84, -0.5, v87, v70
	v_add_f32_e32 v87, v74, v80
	v_sub_f32_e32 v94, v80, v78
	v_sub_f32_e32 v95, v74, v66
	v_fmac_f32_e32 v91, 0x3e9e377a, v90
	v_fmac_f32_e32 v56, 0x3e9e377a, v90
	v_add_f32_e32 v86, v66, v85
	v_fmamk_f32 v85, v93, 0xbf737871, v84
	v_sub_f32_e32 v90, v79, v67
	v_fmac_f32_e32 v70, -0.5, v87
	v_fmac_f32_e32 v84, 0x3f737871, v93
	v_add_f32_e32 v87, v95, v94
	v_sub_f32_e32 v94, v78, v80
	v_sub_f32_e32 v95, v66, v74
	v_fmac_f32_e32 v85, 0xbf167918, v90
	v_fmac_f32_e32 v84, 0x3f167918, v90
	v_add_f32_e32 v96, v67, v79
	v_sub_f32_e32 v80, v80, v74
	v_add_f32_e32 v94, v95, v94
	v_add_f32_e32 v95, v75, v81
	v_fmac_f32_e32 v85, 0x3e9e377a, v87
	v_fmac_f32_e32 v84, 0x3e9e377a, v87
	v_fma_f32 v87, -0.5, v96, v71
	v_sub_f32_e32 v96, v78, v66
	v_fma_f32 v66, -0.5, v95, v71
	v_add_f32_e32 v98, v74, v86
	v_fmamk_f32 v86, v90, 0x3f737871, v70
	v_fmac_f32_e32 v70, 0xbf737871, v90
	v_fmamk_f32 v74, v80, 0x3f737871, v87
	v_sub_f32_e32 v90, v81, v79
	v_sub_f32_e32 v95, v75, v67
	v_fmamk_f32 v78, v96, 0xbf737871, v66
	v_sub_f32_e32 v97, v79, v81
	v_sub_f32_e32 v99, v67, v75
	v_fmac_f32_e32 v66, 0x3f737871, v96
	v_fmac_f32_e32 v74, 0x3f167918, v96
	v_add_f32_e32 v90, v95, v90
	v_fmac_f32_e32 v78, 0x3f167918, v80
	v_fmac_f32_e32 v87, 0xbf737871, v80
	v_add_f32_e32 v95, v99, v97
	v_fmac_f32_e32 v66, 0xbf167918, v80
	v_fmac_f32_e32 v86, 0xbf167918, v93
	;; [unrolled: 1-line block ×8, first 2 shown]
	v_mul_f32_e32 v99, 0xbf167918, v74
	v_fmac_f32_e32 v70, 0x3e9e377a, v94
	v_fmac_f32_e32 v87, 0x3e9e377a, v90
	v_mul_f32_e32 v100, 0xbf737871, v78
	v_mul_f32_e32 v90, 0xbf737871, v66
	v_fmac_f32_e32 v99, 0x3f4f1bbd, v85
	v_mul_u32_u24_e32 v80, 10, v102
	v_mul_f32_e32 v118, 0xbf167918, v87
	v_fmac_f32_e32 v100, 0x3e9e377a, v86
	v_fmac_f32_e32 v90, 0xbe9e377a, v70
	v_add_f32_e32 v101, v64, v48
	v_add_f32_e32 v103, v52, v58
	;; [unrolled: 1-line block ×4, first 2 shown]
	v_fmac_f32_e32 v118, 0xbf4f1bbd, v84
	v_add_f32_e32 v95, v91, v100
	v_add_f32_e32 v96, v56, v90
	v_lshl_add_u32 v80, v80, 2, 0
	v_add_f32_e32 v104, v58, v30
	v_fma_f32 v119, -0.5, v101, v30
	v_sub_f32_e32 v105, v49, v65
	v_fmac_f32_e32 v30, -0.5, v103
	v_add_f32_e32 v97, v88, v118
	v_sub_f32_e32 v98, v92, v98
	v_sub_f32_e32 v99, v89, v99
	;; [unrolled: 1-line block ×3, first 2 shown]
	ds_write2_b64 v80, v[93:94], v[95:96] offset1:1
	v_sub_f32_e32 v89, v59, v53
	v_fmamk_f32 v91, v105, 0x3f737871, v30
	v_sub_f32_e32 v92, v48, v58
	v_sub_f32_e32 v93, v64, v52
	v_fmac_f32_e32 v30, 0xbf737871, v105
	v_sub_f32_e32 v94, v58, v48
	v_sub_f32_e32 v95, v52, v64
	ds_write2_b64 v80, v[97:98], v[99:100] offset0:2 offset1:3
	v_fmac_f32_e32 v91, 0xbf167918, v89
	v_add_f32_e32 v96, v93, v92
	v_fmac_f32_e32 v30, 0x3f167918, v89
	v_add_f32_e32 v92, v54, v62
	v_add_f32_e32 v93, v50, v60
	;; [unrolled: 1-line block ×3, first 2 shown]
	v_sub_f32_e32 v94, v62, v60
	v_sub_f32_e32 v99, v54, v50
	v_add_f32_e32 v106, v51, v61
	v_fmac_f32_e32 v91, 0x3e9e377a, v96
	v_add_f32_e32 v100, v60, v46
	v_fma_f32 v92, -0.5, v92, v46
	v_fmac_f32_e32 v46, -0.5, v93
	v_sub_f32_e32 v101, v63, v55
	v_sub_f32_e32 v95, v60, v62
	;; [unrolled: 1-line block ×3, first 2 shown]
	v_fmac_f32_e32 v30, 0x3e9e377a, v96
	v_add_f32_e32 v96, v99, v94
	v_fma_f32 v94, -0.5, v106, v47
	v_sub_f32_e32 v106, v62, v54
	v_fmamk_f32 v93, v101, 0x3f737871, v46
	v_sub_f32_e32 v103, v61, v51
	v_fmac_f32_e32 v46, 0xbf737871, v101
	v_add_f32_e32 v107, v97, v95
	v_sub_f32_e32 v97, v63, v61
	v_sub_f32_e32 v99, v55, v51
	v_fmamk_f32 v95, v106, 0xbf737871, v94
	v_sub_f32_e32 v108, v60, v50
	v_fmac_f32_e32 v93, 0xbf167918, v103
	v_fmac_f32_e32 v46, 0x3f167918, v103
	v_sub_f32_e32 v109, v61, v63
	v_add_f32_e32 v60, v55, v63
	v_fmac_f32_e32 v94, 0x3f737871, v106
	v_add_f32_e32 v99, v99, v97
	v_sub_f32_e32 v97, v51, v55
	v_fmac_f32_e32 v95, 0x3f167918, v108
	v_add_f32_e32 v62, v62, v100
	v_fmac_f32_e32 v93, 0x3e9e377a, v96
	v_fma_f32 v60, -0.5, v60, v47
	v_fmac_f32_e32 v94, 0xbf167918, v108
	v_fmac_f32_e32 v46, 0x3e9e377a, v96
	v_add_f32_e32 v96, v97, v109
	v_fmac_f32_e32 v95, 0x3e9e377a, v99
	v_add_f32_e32 v104, v48, v104
	v_fmamk_f32 v109, v89, 0xbf737871, v119
	v_add_f32_e32 v54, v54, v62
	v_fmac_f32_e32 v119, 0x3f737871, v89
	v_fmamk_f32 v97, v108, 0x3f737871, v60
	v_fmac_f32_e32 v94, 0x3e9e377a, v99
	v_fmamk_f32 v99, v103, 0xbf737871, v92
	v_add_f32_e32 v100, v64, v104
	v_fmac_f32_e32 v109, 0xbf167918, v105
	v_add_f32_e32 v50, v50, v54
	v_mul_f32_e32 v54, 0xbf737871, v95
	v_fmac_f32_e32 v92, 0x3f737871, v103
	v_fmac_f32_e32 v119, 0x3f167918, v105
	;; [unrolled: 1-line block ×4, first 2 shown]
	v_add_f32_e32 v62, v52, v100
	v_fmac_f32_e32 v109, 0x3e9e377a, v98
	v_fmac_f32_e32 v60, 0xbf737871, v108
	v_fmac_f32_e32 v54, 0x3e9e377a, v93
	v_fmac_f32_e32 v92, 0x3f167918, v101
	v_fmac_f32_e32 v119, 0x3e9e377a, v98
	v_add_f32_e32 v98, v36, v44
	s_waitcnt vmcnt(2)
	v_add_f32_e32 v103, v38, v42
	v_fmac_f32_e32 v97, 0x3e9e377a, v96
	v_fmac_f32_e32 v99, 0x3e9e377a, v107
	;; [unrolled: 1-line block ×3, first 2 shown]
	v_add_f32_e32 v100, v50, v62
	v_fmac_f32_e32 v92, 0x3e9e377a, v107
	v_add_f32_e32 v104, v91, v54
	v_sub_f32_e32 v111, v91, v54
	v_sub_f32_e32 v113, v62, v50
	v_fma_f32 v98, -0.5, v98, v24
	v_add_f32_e32 v107, v42, v24
	v_fmac_f32_e32 v24, -0.5, v103
	v_sub_f32_e32 v103, v45, v37
	v_sub_f32_e32 v50, v44, v42
	;; [unrolled: 1-line block ×5, first 2 shown]
	v_mul_f32_e32 v110, 0xbf167918, v97
	v_fmamk_f32 v121, v103, 0x3f737871, v24
	v_sub_f32_e32 v114, v43, v39
	v_add_f32_e32 v54, v54, v50
	v_fmac_f32_e32 v24, 0xbf737871, v103
	v_add_f32_e32 v50, v28, v34
	v_add_f32_e32 v122, v106, v62
	s_waitcnt vmcnt(0)
	v_add_f32_e32 v62, v32, v40
	v_fmac_f32_e32 v110, 0x3f4f1bbd, v99
	v_fmac_f32_e32 v121, 0xbf167918, v114
	;; [unrolled: 1-line block ×3, first 2 shown]
	v_fma_f32 v50, -0.5, v50, v26
	v_add_f32_e32 v115, v40, v26
	v_fmac_f32_e32 v26, -0.5, v62
	v_sub_f32_e32 v116, v35, v29
	v_add_f32_e32 v101, v109, v110
	v_sub_f32_e32 v110, v109, v110
	v_fmac_f32_e32 v121, 0x3e9e377a, v54
	v_fmac_f32_e32 v24, 0x3e9e377a, v54
	v_sub_f32_e32 v62, v40, v34
	v_sub_f32_e32 v106, v34, v40
	;; [unrolled: 1-line block ×3, first 2 shown]
	v_fmamk_f32 v54, v116, 0x3f737871, v26
	v_sub_f32_e32 v117, v41, v33
	v_sub_f32_e32 v109, v32, v28
	v_fmac_f32_e32 v26, 0xbf737871, v116
	v_add_f32_e32 v123, v33, v41
	v_add_f32_e32 v127, v29, v35
	;; [unrolled: 1-line block ×3, first 2 shown]
	v_fmac_f32_e32 v54, 0xbf167918, v117
	v_add_f32_e32 v124, v109, v62
	v_fmac_f32_e32 v26, 0x3f167918, v117
	v_fma_f32 v62, -0.5, v123, v27
	v_sub_f32_e32 v123, v34, v28
	v_sub_f32_e32 v128, v40, v32
	v_fma_f32 v40, -0.5, v127, v27
	v_fmac_f32_e32 v54, 0x3e9e377a, v108
	v_sub_f32_e32 v109, v41, v35
	v_sub_f32_e32 v125, v35, v41
	;; [unrolled: 1-line block ×3, first 2 shown]
	v_fmamk_f32 v106, v123, 0xbf737871, v62
	v_fmac_f32_e32 v62, 0x3f737871, v123
	v_sub_f32_e32 v129, v33, v29
	v_fmac_f32_e32 v26, 0x3e9e377a, v108
	v_fmamk_f32 v108, v128, 0x3f737871, v40
	v_add_f32_e32 v125, v126, v125
	v_fmac_f32_e32 v106, 0x3f167918, v128
	v_fmac_f32_e32 v62, 0xbf167918, v128
	v_add_f32_e32 v126, v129, v109
	v_add_f32_e32 v107, v44, v107
	v_fmamk_f32 v109, v117, 0xbf737871, v50
	v_fmac_f32_e32 v108, 0x3f167918, v123
	v_fmac_f32_e32 v60, 0x3e9e377a, v96
	v_mul_f32_e32 v120, 0xbf737871, v94
	v_fmac_f32_e32 v106, 0x3e9e377a, v125
	v_fmac_f32_e32 v62, 0x3e9e377a, v125
	v_fmamk_f32 v125, v114, 0xbf737871, v98
	v_add_f32_e32 v34, v34, v115
	v_add_f32_e32 v107, v36, v107
	v_fmac_f32_e32 v109, 0xbf167918, v116
	v_fmac_f32_e32 v108, 0x3e9e377a, v126
	;; [unrolled: 1-line block ×3, first 2 shown]
	v_mul_f32_e32 v96, 0xbf167918, v60
	v_fmac_f32_e32 v120, 0xbe9e377a, v46
	v_fmac_f32_e32 v125, 0xbf167918, v103
	v_add_f32_e32 v28, v28, v34
	v_add_f32_e32 v34, v38, v107
	v_fmac_f32_e32 v109, 0x3e9e377a, v124
	v_mul_f32_e32 v107, 0xbf167918, v108
	v_mul_f32_e32 v127, 0xbf737871, v106
	v_fmac_f32_e32 v50, 0x3f737871, v117
	v_mul_f32_e32 v128, 0xbf737871, v62
	v_fmac_f32_e32 v40, 0xbf167918, v123
	v_fmac_f32_e32 v96, 0xbf4f1bbd, v92
	v_add_f32_e32 v105, v30, v120
	v_add_nc_u32_e32 v89, 0x960, v80
	v_fmac_f32_e32 v125, 0x3e9e377a, v122
	v_add_f32_e32 v28, v32, v28
	v_fmac_f32_e32 v107, 0x3f4f1bbd, v109
	v_fmac_f32_e32 v127, 0x3e9e377a, v54
	;; [unrolled: 1-line block ×6, first 2 shown]
	v_add_f32_e32 v112, v119, v96
	v_add_nc_u32_e32 v91, 0x970, v80
	v_add_f32_e32 v114, v28, v34
	v_add_f32_e32 v115, v125, v107
	;; [unrolled: 1-line block ×4, first 2 shown]
	v_fmac_f32_e32 v98, 0x3f167918, v103
	v_fmac_f32_e32 v50, 0x3e9e377a, v124
	v_mul_f32_e32 v32, 0xbf167918, v40
	v_add_nc_u32_e32 v103, 0x12c0, v80
	ds_write2_b64 v89, v[100:101], v[104:105] offset1:1
	ds_write2_b64 v91, v[112:113], v[110:111] offset1:1
	v_sub_f32_e32 v113, v34, v28
	v_add_f32_e32 v28, v16, v12
	v_fmac_f32_e32 v98, 0x3e9e377a, v122
	v_fmac_f32_e32 v32, 0xbf4f1bbd, v50
	ds_write2_b64 v103, v[114:115], v[116:117] offset1:1
	v_sub_f32_e32 v115, v88, v118
	v_fma_f32 v88, -0.5, v28, v2
	v_sub_f32_e32 v28, v9, v11
	v_add_f32_e32 v112, v98, v32
	v_sub_f32_e32 v114, v56, v90
	v_sub_f32_e32 v117, v119, v96
	;; [unrolled: 1-line block ×6, first 2 shown]
	v_fmamk_f32 v96, v28, 0xbf737871, v88
	v_sub_f32_e32 v34, v13, v17
	v_add_f32_e32 v56, v10, v8
	v_fmac_f32_e32 v88, 0x3f737871, v28
	v_sub_f32_e32 v118, v24, v128
	v_add_f32_e32 v24, v32, v30
	v_fmac_f32_e32 v96, 0xbf167918, v34
	v_fma_f32 v90, -0.5, v56, v2
	v_fmac_f32_e32 v88, 0x3f167918, v34
	v_sub_f32_e32 v30, v12, v8
	v_sub_f32_e32 v32, v16, v10
	v_fmac_f32_e32 v96, 0x3e9e377a, v24
	v_fmamk_f32 v98, v34, 0x3f737871, v90
	v_fmac_f32_e32 v88, 0x3e9e377a, v24
	v_fmac_f32_e32 v90, 0xbf737871, v34
	v_add_f32_e32 v24, v32, v30
	v_add_f32_e32 v30, v17, v13
	v_sub_f32_e32 v32, v9, v13
	v_sub_f32_e32 v34, v11, v17
	v_add_f32_e32 v56, v11, v9
	v_fmac_f32_e32 v98, 0xbf167918, v28
	v_fma_f32 v100, -0.5, v30, v3
	v_sub_f32_e32 v30, v8, v10
	v_fmac_f32_e32 v90, 0x3f167918, v28
	v_add_f32_e32 v28, v34, v32
	v_fma_f32 v104, -0.5, v56, v3
	v_sub_f32_e32 v32, v12, v16
	v_fmamk_f32 v101, v30, 0x3f737871, v100
	v_fmac_f32_e32 v100, 0xbf737871, v30
	v_sub_f32_e32 v34, v13, v9
	v_sub_f32_e32 v56, v17, v11
	v_fmamk_f32 v105, v32, 0xbf737871, v104
	v_fmac_f32_e32 v104, 0x3f737871, v32
	v_fmac_f32_e32 v101, 0x3f167918, v32
	;; [unrolled: 1-line block ×3, first 2 shown]
	v_add_f32_e32 v32, v56, v34
	v_fmac_f32_e32 v105, 0x3f167918, v30
	v_fmac_f32_e32 v104, 0xbf167918, v30
	v_sub_f32_e32 v110, v125, v107
	v_sub_f32_e32 v111, v121, v127
	v_add_nc_u32_e32 v107, 0x12d0, v80
	v_fmac_f32_e32 v98, 0x3e9e377a, v24
	v_fmac_f32_e32 v90, 0x3e9e377a, v24
	v_fmac_f32_e32 v101, 0x3e9e377a, v28
	v_fmac_f32_e32 v100, 0x3e9e377a, v28
	v_fmac_f32_e32 v105, 0x3e9e377a, v32
	v_fmac_f32_e32 v104, 0x3e9e377a, v32
	v_cmp_gt_u32_e64 s0, 36, v102
	ds_write2_b64 v107, v[112:113], v[110:111] offset1:1
	ds_write_b64 v80, v[114:115] offset:32
	ds_write_b64 v80, v[116:117] offset:2432
	;; [unrolled: 1-line block ×3, first 2 shown]
	s_and_saveexec_b32 s1, s0
	s_cbranch_execz .LBB0_17
; %bb.16:
	v_add_f32_e32 v24, v20, v18
	v_add_f32_e32 v34, v22, v14
	v_sub_f32_e32 v28, v14, v18
	v_sub_f32_e32 v30, v22, v20
	;; [unrolled: 1-line block ×3, first 2 shown]
	v_fma_f32 v24, -0.5, v24, v0
	v_sub_f32_e32 v56, v19, v21
	v_fma_f32 v34, -0.5, v34, v0
	v_add_f32_e32 v0, v14, v0
	v_add_f32_e32 v2, v8, v2
	v_sub_f32_e32 v111, v18, v14
	v_fmamk_f32 v114, v32, 0x3f737871, v24
	v_sub_f32_e32 v112, v20, v22
	v_add_f32_e32 v28, v30, v28
	v_fmamk_f32 v30, v56, 0xbf737871, v34
	v_fmac_f32_e32 v34, 0x3f737871, v56
	v_fmac_f32_e32 v24, 0xbf737871, v32
	v_add_f32_e32 v0, v18, v0
	v_add_f32_e32 v2, v12, v2
	v_mul_f32_e32 v120, 0xbf737871, v104
	v_add_f32_e32 v112, v112, v111
	v_fmac_f32_e32 v34, 0xbf167918, v32
	v_fmac_f32_e32 v30, 0x3f167918, v32
	v_mul_f32_e32 v8, 0xbf737871, v105
	v_fmac_f32_e32 v24, 0xbf167918, v56
	v_mul_f32_e32 v12, 0xbf167918, v101
	v_add_f32_e32 v0, v20, v0
	v_add_f32_e32 v2, v16, v2
	v_mul_f32_e32 v110, 0xbf167918, v100
	v_fmac_f32_e32 v114, 0x3f167918, v56
	v_fmac_f32_e32 v34, 0x3e9e377a, v112
	;; [unrolled: 1-line block ×5, first 2 shown]
	v_add_f32_e32 v0, v22, v0
	v_add_f32_e32 v2, v10, v2
	v_fmac_f32_e32 v30, 0x3e9e377a, v112
	v_fmac_f32_e32 v120, 0xbe9e377a, v90
	;; [unrolled: 1-line block ×4, first 2 shown]
	v_sub_f32_e32 v115, v0, v2
	v_add_f32_e32 v116, v34, v8
	v_add_f32_e32 v117, v30, v120
	;; [unrolled: 1-line block ×4, first 2 shown]
	v_add_nc_u32_e32 v0, 0x1c20, v80
	v_sub_f32_e32 v111, v114, v110
	v_sub_f32_e32 v113, v34, v8
	;; [unrolled: 1-line block ×3, first 2 shown]
	v_add_f32_e32 v114, v114, v110
	v_add_nc_u32_e32 v2, 0x1c30, v80
	v_sub_f32_e32 v110, v30, v120
	ds_write2_b64 v0, v[118:119], v[116:117] offset1:1
	ds_write2_b64 v2, v[114:115], v[112:113] offset1:1
	ds_write_b64 v80, v[110:111] offset:7232
.LBB0_17:
	s_or_b32 exec_lo, exec_lo, s1
	v_add_f32_e32 v2, v83, v77
	v_sub_f32_e32 v10, v73, v77
	v_sub_f32_e32 v12, v69, v83
	;; [unrolled: 1-line block ×3, first 2 shown]
	v_add_f32_e32 v16, v69, v73
	v_fma_f32 v2, -0.5, v2, v57
	v_add_f32_e32 v0, v73, v57
	v_add_f32_e32 v10, v12, v10
	;; [unrolled: 1-line block ×3, first 2 shown]
	v_sub_f32_e32 v24, v76, v82
	v_fmamk_f32 v28, v8, 0x3f737871, v2
	v_fmac_f32_e32 v57, -0.5, v16
	v_fmac_f32_e32 v2, 0xbf737871, v8
	v_add_f32_e32 v12, v79, v12
	v_sub_f32_e32 v30, v77, v73
	v_fmac_f32_e32 v28, 0x3f167918, v24
	v_fmamk_f32 v16, v24, 0xbf737871, v57
	v_sub_f32_e32 v32, v83, v69
	v_fmac_f32_e32 v2, 0xbf167918, v24
	v_add_f32_e32 v12, v67, v12
	v_add_f32_e32 v0, v77, v0
	v_fmac_f32_e32 v16, 0x3f167918, v8
	v_fmac_f32_e32 v57, 0x3f737871, v24
	v_add_f32_e32 v24, v32, v30
	v_fmac_f32_e32 v28, 0x3e9e377a, v10
	v_fmac_f32_e32 v2, 0x3e9e377a, v10
	v_add_f32_e32 v10, v75, v12
	v_mul_f32_e32 v12, 0x3f737871, v86
	v_add_f32_e32 v0, v83, v0
	v_fmac_f32_e32 v57, 0xbf167918, v8
	v_fmac_f32_e32 v16, 0x3e9e377a, v24
	v_mul_f32_e32 v8, 0x3f167918, v85
	v_fmac_f32_e32 v12, 0x3e9e377a, v78
	v_add_f32_e32 v0, v69, v0
	v_fmac_f32_e32 v57, 0x3e9e377a, v24
	v_mul_f32_e32 v24, 0x3e9e377a, v66
	v_fmac_f32_e32 v8, 0x3f4f1bbd, v74
	v_add_f32_e32 v32, v65, v49
	v_add_f32_e32 v76, v16, v12
	;; [unrolled: 1-line block ×3, first 2 shown]
	v_sub_f32_e32 v82, v16, v12
	v_add_f32_e32 v12, v53, v59
	v_add_f32_e32 v74, v10, v0
	v_fma_f32 v24, 0x3f737871, v70, -v24
	v_add_f32_e32 v75, v28, v8
	v_fma_f32 v32, -0.5, v32, v31
	v_sub_f32_e32 v52, v58, v52
	v_sub_f32_e32 v79, v0, v10
	v_sub_f32_e32 v81, v28, v8
	v_add_f32_e32 v0, v49, v34
	v_sub_f32_e32 v10, v48, v64
	v_sub_f32_e32 v28, v59, v49
	;; [unrolled: 1-line block ×3, first 2 shown]
	v_fmac_f32_e32 v31, -0.5, v12
	v_mul_f32_e32 v30, 0x3f4f1bbd, v87
	v_add_f32_e32 v77, v57, v24
	v_fmamk_f32 v8, v52, 0x3f737871, v32
	v_add_f32_e32 v16, v34, v28
	v_sub_f32_e32 v83, v57, v24
	v_fmac_f32_e32 v32, 0xbf737871, v52
	v_fmamk_f32 v12, v10, 0xbf737871, v31
	v_sub_f32_e32 v24, v49, v59
	v_sub_f32_e32 v28, v65, v53
	v_fmac_f32_e32 v31, 0x3f737871, v10
	v_fma_f32 v30, 0x3f167918, v84, -v30
	v_fmac_f32_e32 v8, 0x3f167918, v10
	v_fmac_f32_e32 v32, 0xbf167918, v10
	;; [unrolled: 1-line block ×3, first 2 shown]
	v_add_f32_e32 v10, v28, v24
	v_fmac_f32_e32 v31, 0xbf167918, v52
	v_mul_f32_e32 v24, 0x3f167918, v99
	v_add_f32_e32 v78, v2, v30
	v_sub_f32_e32 v84, v2, v30
	v_fmac_f32_e32 v8, 0x3e9e377a, v16
	v_add_f32_e32 v2, v61, v47
	v_fmac_f32_e32 v12, 0x3e9e377a, v10
	v_fmac_f32_e32 v31, 0x3e9e377a, v10
	;; [unrolled: 1-line block ×3, first 2 shown]
	v_mul_f32_e32 v10, 0x3f737871, v93
	v_add_f32_e32 v2, v63, v2
	v_fmac_f32_e32 v32, 0x3e9e377a, v16
	v_mul_f32_e32 v16, 0x3e9e377a, v94
	v_mul_f32_e32 v28, 0x3f4f1bbd, v60
	v_add_f32_e32 v86, v8, v24
	v_fmac_f32_e32 v10, 0x3e9e377a, v95
	v_add_f32_e32 v34, v37, v45
	v_sub_f32_e32 v110, v8, v24
	v_add_f32_e32 v8, v39, v43
	v_add_f32_e32 v0, v65, v0
	;; [unrolled: 1-line block ×3, first 2 shown]
	v_fma_f32 v16, 0x3f737871, v46, -v16
	v_fma_f32 v28, 0x3f167918, v92, -v28
	v_add_f32_e32 v30, v43, v25
	v_add_f32_e32 v92, v12, v10
	v_fma_f32 v63, -0.5, v34, v25
	v_sub_f32_e32 v111, v12, v10
	v_sub_f32_e32 v10, v44, v36
	v_fmac_f32_e32 v25, -0.5, v8
	v_add_f32_e32 v0, v53, v0
	v_add_f32_e32 v2, v51, v2
	;; [unrolled: 1-line block ×4, first 2 shown]
	v_sub_f32_e32 v34, v42, v38
	v_sub_f32_e32 v112, v31, v16
	;; [unrolled: 1-line block ×3, first 2 shown]
	v_fmamk_f32 v16, v10, 0xbf737871, v25
	v_sub_f32_e32 v24, v45, v43
	v_sub_f32_e32 v28, v37, v39
	v_fmac_f32_e32 v25, 0x3f737871, v10
	v_add_f32_e32 v85, v2, v0
	v_sub_f32_e32 v95, v0, v2
	v_fmamk_f32 v2, v34, 0x3f737871, v63
	v_sub_f32_e32 v8, v43, v45
	v_sub_f32_e32 v12, v39, v37
	v_fmac_f32_e32 v63, 0xbf737871, v34
	v_add_f32_e32 v27, v41, v27
	v_fmac_f32_e32 v16, 0x3f167918, v34
	v_add_f32_e32 v24, v28, v24
	;; [unrolled: 2-line block ×5, first 2 shown]
	v_fmac_f32_e32 v16, 0x3e9e377a, v24
	v_mul_f32_e32 v27, 0x3e9e377a, v62
	v_fmac_f32_e32 v25, 0x3e9e377a, v24
	v_mul_f32_e32 v24, 0x3f4f1bbd, v40
	v_lshl_add_u32 v62, v102, 2, 0
	v_add_f32_e32 v0, v37, v30
	v_fmac_f32_e32 v2, 0x3e9e377a, v8
	v_fmac_f32_e32 v63, 0x3e9e377a, v8
	v_add_f32_e32 v8, v29, v12
	v_fma_f32 v97, 0x3f167918, v50, -v24
	v_add_nc_u32_e32 v64, 0x400, v62
	v_add_nc_u32_e32 v24, 0xa00, v62
	;; [unrolled: 1-line block ×11, first 2 shown]
	v_add_f32_e32 v0, v39, v0
	v_mul_f32_e32 v12, 0x3f737871, v54
	v_add_f32_e32 v8, v33, v8
	v_fma_f32 v87, 0x3f737871, v26, -v27
	s_waitcnt lgkmcnt(0)
	s_barrier
	buffer_gl0_inv
	ds_read2_b32 v[28:29], v62 offset1:60
	ds_read2_b32 v[52:53], v64 offset0:104 offset1:164
	ds_read2_b32 v[48:49], v24 offset0:80 offset1:140
	;; [unrolled: 1-line block ×17, first 2 shown]
	v_mul_f32_e32 v10, 0x3f167918, v109
	v_fmac_f32_e32 v12, 0x3e9e377a, v106
	v_add_f32_e32 v115, v25, v87
	v_add_f32_e32 v116, v63, v97
	v_sub_f32_e32 v117, v0, v8
	v_fmac_f32_e32 v10, 0x3f4f1bbd, v108
	v_add_f32_e32 v114, v16, v12
	v_sub_f32_e32 v119, v16, v12
	v_add_nc_u32_e32 v12, 0xb4, v102
	v_add_f32_e32 v108, v8, v0
	v_add_f32_e32 v109, v2, v10
	v_sub_f32_e32 v118, v2, v10
	v_sub_f32_e32 v120, v25, v87
	;; [unrolled: 1-line block ×3, first 2 shown]
	s_waitcnt lgkmcnt(0)
	s_barrier
	buffer_gl0_inv
	ds_write2_b64 v80, v[74:75], v[76:77] offset1:1
	ds_write2_b64 v80, v[78:79], v[81:82] offset0:2 offset1:3
	ds_write_b64 v80, v[83:84] offset:32
	ds_write2_b64 v89, v[85:86], v[92:93] offset1:1
	ds_write2_b64 v91, v[94:95], v[110:111] offset1:1
	ds_write_b64 v80, v[112:113] offset:2432
	ds_write2_b64 v103, v[108:109], v[114:115] offset1:1
	ds_write2_b64 v107, v[116:117], v[118:119] offset1:1
	ds_write_b64 v80, v[120:121] offset:4832
	s_and_saveexec_b32 s1, s0
	s_cbranch_execz .LBB0_19
; %bb.18:
	v_add_f32_e32 v2, v21, v19
	v_sub_f32_e32 v8, v14, v22
	v_add_f32_e32 v0, v15, v1
	v_sub_f32_e32 v10, v15, v19
	v_sub_f32_e32 v14, v23, v21
	v_fma_f32 v16, -0.5, v2, v1
	v_add_f32_e32 v2, v23, v15
	v_sub_f32_e32 v18, v18, v20
	v_add_f32_e32 v3, v9, v3
	v_add_f32_e32 v0, v19, v0
	v_fmamk_f32 v20, v8, 0x3f737871, v16
	v_fmac_f32_e32 v1, -0.5, v2
	v_fmac_f32_e32 v16, 0xbf737871, v8
	v_add_f32_e32 v2, v14, v10
	v_sub_f32_e32 v10, v19, v15
	v_fmac_f32_e32 v20, 0x3f167918, v18
	v_fmamk_f32 v14, v18, 0xbf737871, v1
	v_sub_f32_e32 v15, v21, v23
	v_fmac_f32_e32 v1, 0x3f737871, v18
	v_fmac_f32_e32 v16, 0xbf167918, v18
	v_add_f32_e32 v3, v13, v3
	v_add_f32_e32 v0, v21, v0
	v_fmac_f32_e32 v14, 0x3f167918, v8
	v_add_f32_e32 v9, v15, v10
	v_fmac_f32_e32 v1, 0xbf167918, v8
	v_fmac_f32_e32 v20, 0x3e9e377a, v2
	;; [unrolled: 1-line block ×3, first 2 shown]
	v_add_f32_e32 v2, v17, v3
	v_mul_f32_e32 v13, 0x3f167918, v96
	v_mul_f32_e32 v15, 0x3f737871, v98
	;; [unrolled: 1-line block ×4, first 2 shown]
	v_add_f32_e32 v0, v23, v0
	v_fmac_f32_e32 v14, 0x3e9e377a, v9
	v_fmac_f32_e32 v1, 0x3e9e377a, v9
	v_add_f32_e32 v11, v11, v2
	v_fmac_f32_e32 v13, 0x3f4f1bbd, v101
	v_fmac_f32_e32 v15, 0x3e9e377a, v105
	v_fma_f32 v17, 0x3f737871, v90, -v3
	v_mul_u32_u24_e32 v19, 10, v12
	v_fma_f32 v18, 0x3f167918, v88, -v8
	v_add_f32_e32 v2, v11, v0
	v_add_f32_e32 v3, v20, v13
	;; [unrolled: 1-line block ×4, first 2 shown]
	v_sub_f32_e32 v14, v14, v15
	v_lshl_add_u32 v15, v19, 2, 0
	v_add_f32_e32 v10, v16, v18
	v_sub_f32_e32 v11, v0, v11
	v_sub_f32_e32 v13, v20, v13
	;; [unrolled: 1-line block ×4, first 2 shown]
	ds_write2_b64 v15, v[2:3], v[8:9] offset1:1
	ds_write2_b64 v15, v[10:11], v[13:14] offset0:2 offset1:3
	ds_write_b64 v15, v[0:1] offset:32
.LBB0_19:
	s_or_b32 exec_lo, exec_lo, s1
	v_add_nc_u32_e32 v13, 0xf0, v102
	v_mov_b32_e32 v0, 0xcccd
	v_add_nc_u32_e32 v63, 0x12c, v102
	v_and_b32_e32 v9, 0xff, v102
	v_add_nc_u16 v15, v102, 60
	v_mov_b32_e32 v76, 5
	v_mul_u32_u24_sdwa v1, v13, v0 dst_sel:DWORD dst_unused:UNUSED_PAD src0_sel:WORD_0 src1_sel:DWORD
	v_mul_u32_u24_sdwa v0, v63, v0 dst_sel:DWORD dst_unused:UNUSED_PAD src0_sel:WORD_0 src1_sel:DWORD
	v_mul_lo_u16 v9, 0xcd, v9
	v_and_b32_e32 v14, 0xff, v15
	s_waitcnt lgkmcnt(0)
	v_lshrrev_b32_e32 v17, 19, v1
	v_lshrrev_b32_e32 v10, 19, v0
	v_lshrrev_b16 v21, 11, v9
	v_mul_lo_u16 v9, 0xcd, v14
	s_barrier
	v_mul_lo_u16 v0, v17, 10
	v_mul_lo_u16 v1, v10, 10
	;; [unrolled: 1-line block ×3, first 2 shown]
	buffer_gl0_inv
	v_lshrrev_b16 v20, 11, v9
	v_sub_nc_u16 v18, v13, v0
	v_sub_nc_u16 v11, v63, v1
	;; [unrolled: 1-line block ×3, first 2 shown]
	v_and_b32_e32 v14, 0xff, v12
	v_mul_lo_u16 v9, v20, 10
	v_mul_u32_u24_sdwa v0, v18, v76 dst_sel:DWORD dst_unused:UNUSED_PAD src0_sel:WORD_0 src1_sel:DWORD
	v_mul_u32_u24_sdwa v1, v11, v76 dst_sel:DWORD dst_unused:UNUSED_PAD src0_sel:WORD_0 src1_sel:DWORD
	v_mul_u32_u24_sdwa v16, v23, v76 dst_sel:DWORD dst_unused:UNUSED_PAD src0_sel:BYTE_0 src1_sel:DWORD
	v_mul_lo_u16 v19, 0xcd, v14
	v_sub_nc_u16 v25, v15, v9
	v_lshlrev_b32_e32 v8, 3, v0
	v_lshlrev_b32_e32 v77, 3, v1
	;; [unrolled: 1-line block ×3, first 2 shown]
	v_lshrrev_b16 v19, 11, v19
	v_mul_u32_u24_sdwa v9, v25, v76 dst_sel:DWORD dst_unused:UNUSED_PAD src0_sel:BYTE_0 src1_sel:DWORD
	s_clause 0x2
	global_load_dwordx4 v[0:3], v8, s[12:13]
	global_load_dwordx4 v[87:90], v8, s[12:13] offset:16
	global_load_dwordx4 v[83:86], v77, s[12:13]
	v_mul_lo_u16 v15, v19, 10
	s_clause 0x3
	global_load_dwordx4 v[91:94], v77, s[12:13] offset:16
	global_load_dwordx2 v[99:100], v77, s[12:13] offset:32
	global_load_dwordx4 v[95:98], v78, s[12:13]
	global_load_dwordx4 v[107:110], v78, s[12:13] offset:16
	v_sub_nc_u16 v22, v12, v15
	v_add_nc_u16 v15, v102, 0x78
	v_lshlrev_b32_e32 v79, 3, v9
	v_mul_u32_u24_sdwa v9, v22, v76 dst_sel:DWORD dst_unused:UNUSED_PAD src0_sel:BYTE_0 src1_sel:DWORD
	v_and_b32_e32 v16, 0xff, v15
	global_load_dwordx4 v[103:106], v79, s[12:13]
	v_lshlrev_b32_e32 v80, 3, v9
	v_mul_lo_u16 v9, 0xcd, v16
	global_load_dwordx4 v[111:114], v80, s[12:13] offset:16
	v_lshrrev_b16 v74, 11, v9
	s_clause 0x2
	global_load_dwordx2 v[8:9], v8, s[12:13] offset:32
	global_load_dwordx4 v[115:118], v79, s[12:13] offset:16
	global_load_dwordx2 v[131:132], v80, s[12:13] offset:32
	v_mul_lo_u16 v75, v74, 10
	v_sub_nc_u16 v75, v15, v75
	v_mul_u32_u24_sdwa v76, v75, v76 dst_sel:DWORD dst_unused:UNUSED_PAD src0_sel:BYTE_0 src1_sel:DWORD
	v_lshlrev_b32_e32 v76, 3, v76
	s_clause 0x5
	global_load_dwordx4 v[119:122], v76, s[12:13] offset:16
	global_load_dwordx2 v[133:134], v78, s[12:13] offset:32
	global_load_dwordx2 v[135:136], v79, s[12:13] offset:32
	global_load_dwordx4 v[123:126], v76, s[12:13]
	global_load_dwordx2 v[137:138], v76, s[12:13] offset:32
	global_load_dwordx4 v[127:130], v80, s[12:13]
	ds_read2_b32 v[80:81], v71 offset0:88 offset1:148
	ds_read2_b32 v[139:140], v69 offset0:192 offset1:252
	;; [unrolled: 1-line block ×6, first 2 shown]
	s_waitcnt vmcnt(17) lgkmcnt(5)
	v_mul_f32_e32 v77, v80, v1
	v_mul_f32_e32 v1, v60, v1
	s_waitcnt lgkmcnt(4)
	v_mul_f32_e32 v79, v139, v3
	v_mul_f32_e32 v3, v58, v3
	s_waitcnt vmcnt(15)
	v_mul_f32_e32 v76, v81, v84
	v_fmac_f32_e32 v77, v60, v0
	v_fma_f32 v78, v80, v0, -v1
	v_fmac_f32_e32 v79, v58, v2
	v_fma_f32 v82, v139, v2, -v3
	v_mul_f32_e32 v2, v61, v84
	ds_read2_b32 v[0:1], v64 offset0:104 offset1:164
	v_mul_f32_e32 v3, v59, v86
	v_mul_f32_e32 v60, v140, v86
	v_fmac_f32_e32 v76, v61, v83
	v_fma_f32 v58, v81, v83, -v2
	s_waitcnt lgkmcnt(4)
	v_mul_f32_e32 v80, v141, v88
	v_fma_f32 v61, v140, v85, -v3
	v_mul_f32_e32 v2, v56, v88
	v_mul_f32_e32 v3, v54, v90
	v_fmac_f32_e32 v60, v59, v85
	ds_read2_b32 v[85:86], v66 offset0:160 offset1:220
	s_waitcnt lgkmcnt(4)
	v_mul_f32_e32 v84, v143, v90
	s_waitcnt vmcnt(14)
	v_mul_f32_e32 v59, v142, v92
	v_fmac_f32_e32 v80, v56, v87
	v_fma_f32 v81, v141, v87, -v2
	v_fma_f32 v83, v143, v89, -v3
	v_mul_f32_e32 v2, v57, v92
	ds_read2_b32 v[87:88], v67 offset0:176 offset1:236
	v_mul_f32_e32 v56, v144, v94
	v_mul_f32_e32 v3, v55, v94
	v_fmac_f32_e32 v84, v54, v89
	v_fmac_f32_e32 v59, v57, v91
	v_fma_f32 v54, v142, v91, -v2
	ds_read2_b32 v[89:90], v72 offset0:24 offset1:84
	v_fmac_f32_e32 v56, v55, v93
	ds_read2_b32 v[91:92], v73 offset0:120 offset1:180
	v_fma_f32 v55, v144, v93, -v3
	s_waitcnt vmcnt(12)
	v_mul_f32_e32 v2, v52, v96
	s_waitcnt lgkmcnt(6)
	v_mul_f32_e32 v101, v145, v98
	v_mul_f32_e32 v3, v48, v98
	s_waitcnt lgkmcnt(4)
	v_mul_f32_e32 v57, v0, v96
	ds_read2_b32 v[93:94], v68 offset0:8 offset1:68
	v_fma_f32 v139, v0, v95, -v2
	v_fmac_f32_e32 v101, v48, v97
	s_waitcnt vmcnt(10)
	v_mul_f32_e32 v48, v1, v104
	v_fma_f32 v140, v145, v97, -v3
	v_mul_f32_e32 v0, v53, v104
	v_mul_f32_e32 v104, v146, v106
	;; [unrolled: 1-line block ×3, first 2 shown]
	v_fmac_f32_e32 v57, v52, v95
	ds_read2_b32 v[95:96], v68 offset0:128 offset1:188
	v_fmac_f32_e32 v48, v53, v103
	v_fmac_f32_e32 v104, v49, v105
	v_fma_f32 v105, v146, v105, -v97
	s_waitcnt vmcnt(9)
	v_mul_f32_e32 v97, v43, v112
	v_fma_f32 v103, v1, v103, -v0
	ds_read2_b32 v[52:53], v65 offset0:96 offset1:156
	v_mul_f32_e32 v49, v147, v108
	v_mul_f32_e32 v0, v46, v108
	s_waitcnt lgkmcnt(6)
	v_mul_f32_e32 v106, v85, v110
	s_waitcnt lgkmcnt(5)
	v_mul_f32_e32 v108, v88, v112
	v_fma_f32 v88, v88, v111, -v97
	ds_read2_b32 v[97:98], v69 offset0:72 offset1:132
	v_mul_f32_e32 v1, v44, v110
	s_waitcnt lgkmcnt(5)
	v_mul_f32_e32 v110, v90, v114
	v_fmac_f32_e32 v106, v44, v109
	s_waitcnt vmcnt(8) lgkmcnt(4)
	v_mul_f32_e32 v44, v91, v9
	ds_read2_b32 v[2:3], v62 offset1:60
	v_fmac_f32_e32 v49, v46, v107
	v_fma_f32 v107, v147, v107, -v0
	v_fma_f32 v85, v85, v109, -v1
	v_mul_f32_e32 v0, v41, v114
	v_mul_f32_e32 v1, v50, v9
	v_fmac_f32_e32 v108, v43, v111
	v_fmac_f32_e32 v110, v41, v113
	v_mul_f32_e32 v41, v92, v100
	v_mul_f32_e32 v43, v51, v100
	v_fmac_f32_e32 v44, v50, v8
	s_waitcnt vmcnt(7)
	v_mul_f32_e32 v50, v148, v116
	v_fma_f32 v46, v91, v8, -v1
	ds_read2_b32 v[8:9], v62 offset0:120 offset1:180
	v_fmac_f32_e32 v41, v51, v99
	v_fma_f32 v43, v92, v99, -v43
	s_waitcnt vmcnt(6) lgkmcnt(4)
	v_mul_f32_e32 v51, v96, v132
	v_mul_f32_e32 v91, v39, v132
	;; [unrolled: 1-line block ×4, first 2 shown]
	v_fmac_f32_e32 v50, v47, v115
	v_mul_f32_e32 v47, v45, v118
	s_waitcnt vmcnt(5)
	v_mul_f32_e32 v100, v87, v120
	v_mul_f32_e32 v109, v42, v120
	v_fma_f32 v90, v90, v113, -v0
	v_fma_f32 v92, v148, v115, -v92
	v_mul_f32_e32 v111, v89, v122
	v_fmac_f32_e32 v99, v45, v117
	s_waitcnt vmcnt(4)
	v_mul_f32_e32 v112, v93, v134
	v_fma_f32 v47, v86, v117, -v47
	v_mul_f32_e32 v86, v36, v134
	s_waitcnt vmcnt(3)
	v_mul_f32_e32 v113, v94, v136
	v_mul_f32_e32 v114, v37, v136
	s_waitcnt vmcnt(2) lgkmcnt(3)
	v_mul_f32_e32 v115, v52, v124
	v_mul_f32_e32 v116, v32, v124
	s_waitcnt lgkmcnt(2)
	v_mul_f32_e32 v117, v97, v126
	v_fmac_f32_e32 v51, v39, v131
	v_fma_f32 v39, v96, v131, -v91
	v_mul_f32_e32 v91, v34, v126
	s_waitcnt vmcnt(1)
	v_mul_f32_e32 v96, v95, v138
	v_fmac_f32_e32 v100, v42, v119
	v_mul_f32_e32 v42, v38, v138
	s_waitcnt vmcnt(0)
	v_mul_f32_e32 v118, v53, v128
	v_fma_f32 v87, v87, v119, -v109
	v_mul_f32_e32 v109, v33, v128
	v_mul_f32_e32 v45, v40, v122
	;; [unrolled: 1-line block ×3, first 2 shown]
	v_fmac_f32_e32 v111, v40, v121
	v_mul_f32_e32 v40, v35, v130
	v_fmac_f32_e32 v112, v36, v133
	v_fma_f32 v36, v93, v133, -v86
	v_fmac_f32_e32 v113, v37, v135
	v_fma_f32 v37, v94, v135, -v114
	;; [unrolled: 2-line block ×6, first 2 shown]
	v_add_f32_e32 v94, v108, v51
	v_add_f32_e32 v97, v88, v39
	v_fma_f32 v45, v89, v121, -v45
	v_fmac_f32_e32 v119, v35, v129
	v_fma_f32 v35, v98, v129, -v40
	v_add_f32_e32 v40, v28, v101
	v_add_f32_e32 v42, v101, v106
	s_waitcnt lgkmcnt(1)
	v_add_f32_e32 v53, v2, v140
	v_add_f32_e32 v86, v140, v85
	;; [unrolled: 1-line block ×4, first 2 shown]
	v_sub_f32_e32 v95, v88, v39
	v_sub_f32_e32 v98, v108, v51
	;; [unrolled: 1-line block ×3, first 2 shown]
	v_add_f32_e32 v107, v107, v36
	v_sub_f32_e32 v116, v92, v37
	v_add_f32_e32 v120, v103, v92
	v_add_f32_e32 v92, v92, v37
	;; [unrolled: 1-line block ×4, first 2 shown]
	v_fmac_f32_e32 v118, -0.5, v94
	v_sub_f32_e32 v94, v87, v38
	v_add_f32_e32 v88, v33, v88
	v_fmac_f32_e32 v33, -0.5, v97
	v_add_f32_e32 v97, v32, v87
	v_add_f32_e32 v87, v87, v38
	v_sub_f32_e32 v89, v101, v106
	v_add_f32_e32 v109, v49, v112
	v_sub_f32_e32 v49, v49, v112
	v_add_f32_e32 v40, v40, v106
	v_fma_f32 v28, -0.5, v42, v28
	v_add_f32_e32 v42, v53, v85
	v_fma_f32 v2, -0.5, v86, v2
	v_add_f32_e32 v53, v91, v112
	v_add_f32_e32 v36, v93, v36
	;; [unrolled: 1-line block ×3, first 2 shown]
	v_sub_f32_e32 v91, v105, v47
	v_add_f32_e32 v93, v3, v105
	v_add_f32_e32 v105, v105, v47
	;; [unrolled: 1-line block ×4, first 2 shown]
	v_sub_f32_e32 v50, v50, v113
	v_sub_f32_e32 v123, v34, v45
	s_waitcnt lgkmcnt(0)
	v_add_f32_e32 v124, v8, v34
	v_add_f32_e32 v34, v34, v45
	;; [unrolled: 1-line block ×3, first 2 shown]
	v_sub_f32_e32 v100, v100, v96
	v_add_f32_e32 v130, v9, v35
	v_fmac_f32_e32 v139, -0.5, v107
	v_fmac_f32_e32 v103, -0.5, v92
	;; [unrolled: 1-line block ×4, first 2 shown]
	ds_read2_b32 v[0:1], v70 offset0:112 offset1:172
	v_sub_f32_e32 v52, v140, v85
	v_add_f32_e32 v85, v29, v104
	v_sub_f32_e32 v104, v104, v99
	v_add_f32_e32 v121, v30, v117
	v_add_f32_e32 v122, v117, v111
	v_sub_f32_e32 v129, v35, v90
	v_add_f32_e32 v35, v35, v90
	v_fmac_f32_e32 v57, -0.5, v109
	v_fmac_f32_e32 v29, -0.5, v86
	v_add_f32_e32 v47, v93, v47
	v_fmac_f32_e32 v3, -0.5, v105
	v_fmac_f32_e32 v48, -0.5, v112
	v_fma_f32 v8, -0.5, v34, v8
	v_add_f32_e32 v34, v125, v96
	v_add_f32_e32 v38, v97, v38
	;; [unrolled: 1-line block ×4, first 2 shown]
	v_fmamk_f32 v88, v98, 0x3f5db3d7, v33
	v_fmac_f32_e32 v33, 0xbf5db3d7, v98
	v_fmamk_f32 v93, v49, 0x3f5db3d7, v139
	v_fmac_f32_e32 v139, 0xbf5db3d7, v49
	v_fmamk_f32 v96, v50, 0x3f5db3d7, v103
	v_fmac_f32_e32 v103, 0xbf5db3d7, v50
	v_fmamk_f32 v97, v94, 0xbf5db3d7, v115
	v_fmac_f32_e32 v115, 0x3f5db3d7, v94
	v_fmamk_f32 v94, v100, 0x3f5db3d7, v32
	v_sub_f32_e32 v117, v117, v111
	v_add_f32_e32 v127, v31, v119
	v_add_f32_e32 v128, v119, v110
	v_sub_f32_e32 v119, v119, v110
	v_fmamk_f32 v107, v52, 0xbf5db3d7, v28
	v_fmac_f32_e32 v28, 0x3f5db3d7, v52
	v_fmamk_f32 v52, v89, 0x3f5db3d7, v2
	v_fmac_f32_e32 v2, 0xbf5db3d7, v89
	v_add_f32_e32 v89, v40, v53
	v_sub_f32_e32 v40, v40, v53
	v_add_f32_e32 v53, v42, v36
	v_sub_f32_e32 v36, v42, v36
	v_add_f32_e32 v42, v85, v99
	v_add_f32_e32 v85, v106, v113
	;; [unrolled: 1-line block ×4, first 2 shown]
	v_fma_f32 v30, -0.5, v122, v30
	v_fmac_f32_e32 v9, -0.5, v35
	v_add_f32_e32 v35, v108, v51
	v_fmamk_f32 v51, v95, 0xbf5db3d7, v118
	v_fmac_f32_e32 v118, 0x3f5db3d7, v95
	v_fmamk_f32 v92, v114, 0xbf5db3d7, v57
	v_fmac_f32_e32 v57, 0x3f5db3d7, v114
	;; [unrolled: 2-line block ×5, first 2 shown]
	v_fmac_f32_e32 v32, 0xbf5db3d7, v100
	v_mul_f32_e32 v104, 0xbf5db3d7, v33
	v_add_f32_e32 v108, v90, v39
	v_mul_f32_e32 v33, -0.5, v33
	v_sub_f32_e32 v39, v90, v39
	v_mul_f32_e32 v90, 0xbf5db3d7, v139
	v_mul_f32_e32 v111, 0xbf5db3d7, v103
	v_mul_f32_e32 v103, -0.5, v103
	v_mul_f32_e32 v112, 0xbf5db3d7, v94
	v_mul_f32_e32 v94, 0.5, v94
	v_add_f32_e32 v87, v127, v110
	v_add_f32_e32 v50, v42, v85
	;; [unrolled: 1-line block ×3, first 2 shown]
	v_sub_f32_e32 v42, v42, v85
	v_sub_f32_e32 v37, v47, v37
	v_fmamk_f32 v47, v123, 0xbf5db3d7, v30
	v_fmamk_f32 v85, v117, 0x3f5db3d7, v8
	v_add_f32_e32 v98, v86, v34
	v_sub_f32_e32 v34, v86, v34
	v_fmamk_f32 v86, v119, 0x3f5db3d7, v9
	v_fmac_f32_e32 v9, 0xbf5db3d7, v119
	v_mul_f32_e32 v100, 0xbf5db3d7, v88
	v_mul_f32_e32 v88, 0.5, v88
	v_mul_f32_e32 v110, 0xbf5db3d7, v96
	v_mul_f32_e32 v96, 0.5, v96
	v_mul_f32_e32 v113, 0xbf5db3d7, v32
	v_mul_f32_e32 v32, -0.5, v32
	v_fmac_f32_e32 v33, 0x3f5db3d7, v118
	v_fmac_f32_e32 v90, -0.5, v57
	v_fmac_f32_e32 v111, -0.5, v48
	v_fmac_f32_e32 v103, 0x3f5db3d7, v48
	v_fmac_f32_e32 v112, 0.5, v97
	v_fmac_f32_e32 v94, 0x3f5db3d7, v97
	v_add_f32_e32 v101, v79, v84
	v_fmac_f32_e32 v8, 0xbf5db3d7, v117
	v_mul_f32_e32 v109, -0.5, v139
	v_fmac_f32_e32 v104, -0.5, v118
	v_fmac_f32_e32 v88, 0x3f5db3d7, v51
	v_fmac_f32_e32 v110, 0.5, v95
	v_fmac_f32_e32 v96, 0x3f5db3d7, v95
	v_fmac_f32_e32 v32, 0x3f5db3d7, v115
	v_add_f32_e32 v114, v9, v33
	v_add_f32_e32 v95, v28, v90
	v_sub_f32_e32 v28, v28, v90
	v_add_f32_e32 v90, v29, v111
	v_add_f32_e32 v117, v3, v103
	v_sub_f32_e32 v29, v29, v111
	v_sub_f32_e32 v111, v3, v103
	v_add_f32_e32 v3, v47, v112
	v_add_f32_e32 v118, v85, v94
	v_sub_f32_e32 v47, v47, v112
	v_sub_f32_e32 v112, v85, v94
	v_add_f32_e32 v85, v26, v79
	v_sub_f32_e32 v9, v9, v33
	v_add_f32_e32 v33, v82, v83
	v_fmac_f32_e32 v109, 0x3f5db3d7, v57
	v_add_f32_e32 v57, v86, v88
	v_add_f32_e32 v119, v8, v32
	v_sub_f32_e32 v8, v8, v32
	v_sub_f32_e32 v32, v86, v88
	v_fma_f32 v26, -0.5, v101, v26
	v_sub_f32_e32 v86, v82, v83
	v_add_f32_e32 v85, v85, v84
	s_waitcnt lgkmcnt(0)
	v_add_f32_e32 v82, v0, v82
	v_fma_f32 v0, -0.5, v33, v0
	v_sub_f32_e32 v33, v79, v84
	v_add_f32_e32 v84, v81, v46
	v_fmamk_f32 v79, v86, 0xbf5db3d7, v26
	v_fmac_f32_e32 v26, 0x3f5db3d7, v86
	v_add_f32_e32 v86, v80, v44
	v_add_f32_e32 v88, v78, v81
	v_fmac_f32_e32 v78, -0.5, v84
	v_sub_f32_e32 v84, v80, v44
	v_add_f32_e32 v82, v82, v83
	v_fmamk_f32 v83, v33, 0x3f5db3d7, v0
	v_add_f32_e32 v80, v77, v80
	v_fmac_f32_e32 v77, -0.5, v86
	v_sub_f32_e32 v81, v81, v46
	v_fmac_f32_e32 v0, 0xbf5db3d7, v33
	v_fmamk_f32 v33, v84, 0x3f5db3d7, v78
	v_fmac_f32_e32 v78, 0xbf5db3d7, v84
	v_add_f32_e32 v44, v80, v44
	v_fmamk_f32 v80, v81, 0xbf5db3d7, v77
	v_fmac_f32_e32 v77, 0x3f5db3d7, v81
	v_mul_f32_e32 v81, 0xbf5db3d7, v33
	v_mul_f32_e32 v84, 0xbf5db3d7, v78
	v_mul_f32_e32 v78, -0.5, v78
	v_add_f32_e32 v99, v87, v35
	v_sub_f32_e32 v35, v87, v35
	v_mul_f32_e32 v87, 0xbf5db3d7, v93
	v_fmac_f32_e32 v81, 0.5, v80
	v_fmac_f32_e32 v78, 0x3f5db3d7, v77
	v_fmac_f32_e32 v30, 0x3f5db3d7, v123
	v_mul_f32_e32 v93, 0.5, v93
	v_fmac_f32_e32 v87, 0.5, v92
	v_fmac_f32_e32 v113, -0.5, v115
	v_add_f32_e32 v46, v88, v46
	v_fmac_f32_e32 v84, -0.5, v77
	v_add_f32_e32 v77, v79, v81
	v_add_f32_e32 v121, v0, v78
	v_sub_f32_e32 v79, v79, v81
	v_add_f32_e32 v81, v60, v56
	v_sub_f32_e32 v122, v0, v78
	v_add_f32_e32 v0, v61, v55
	v_fmac_f32_e32 v93, 0x3f5db3d7, v92
	v_add_f32_e32 v92, v107, v87
	v_add_f32_e32 v116, v2, v109
	v_sub_f32_e32 v87, v107, v87
	v_sub_f32_e32 v107, v2, v109
	v_add_f32_e32 v2, v49, v110
	v_add_f32_e32 v109, v91, v96
	v_sub_f32_e32 v49, v49, v110
	v_sub_f32_e32 v110, v91, v96
	v_add_f32_e32 v91, v30, v113
	v_sub_f32_e32 v30, v30, v113
	v_add_f32_e32 v113, v82, v46
	;; [unrolled: 2-line block ×3, first 2 shown]
	v_fmac_f32_e32 v27, -0.5, v81
	v_sub_f32_e32 v78, v61, v55
	v_add_f32_e32 v61, v1, v61
	v_fmac_f32_e32 v1, -0.5, v0
	v_sub_f32_e32 v0, v60, v56
	v_add_f32_e32 v60, v54, v43
	v_add_f32_e32 v81, v82, v56
	v_fmamk_f32 v56, v78, 0xbf5db3d7, v27
	v_fmac_f32_e32 v27, 0x3f5db3d7, v78
	v_add_f32_e32 v78, v59, v41
	v_add_f32_e32 v82, v58, v54
	v_fmac_f32_e32 v58, -0.5, v60
	v_sub_f32_e32 v60, v59, v41
	v_add_f32_e32 v55, v61, v55
	v_fmamk_f32 v61, v0, 0x3f5db3d7, v1
	v_add_f32_e32 v59, v76, v59
	v_fmac_f32_e32 v76, -0.5, v78
	v_sub_f32_e32 v54, v54, v43
	v_fmac_f32_e32 v1, 0xbf5db3d7, v0
	v_fmamk_f32 v0, v60, 0x3f5db3d7, v58
	v_fmac_f32_e32 v58, 0xbf5db3d7, v60
	v_add_f32_e32 v41, v59, v41
	v_fmamk_f32 v59, v54, 0xbf5db3d7, v76
	v_fmac_f32_e32 v76, 0x3f5db3d7, v54
	v_mul_f32_e32 v54, 0xbf5db3d7, v0
	v_mul_f32_e32 v60, 0xbf5db3d7, v58
	v_mul_f32_e32 v0, 0.5, v0
	v_mul_f32_e32 v58, -0.5, v58
	v_add_f32_e32 v43, v82, v43
	v_fmac_f32_e32 v54, 0.5, v59
	v_fmac_f32_e32 v60, -0.5, v76
	v_fmac_f32_e32 v0, 0x3f5db3d7, v59
	v_fmac_f32_e32 v58, 0x3f5db3d7, v76
	v_add_f32_e32 v45, v124, v45
	v_add_f32_e32 v59, v56, v54
	;; [unrolled: 1-line block ×3, first 2 shown]
	v_sub_f32_e32 v54, v56, v54
	v_sub_f32_e32 v27, v27, v60
	v_mov_b32_e32 v56, 0xf0
	v_mov_b32_e32 v60, 2
	v_add_f32_e32 v123, v55, v43
	v_add_f32_e32 v124, v61, v0
	;; [unrolled: 1-line block ×3, first 2 shown]
	v_sub_f32_e32 v43, v55, v43
	v_sub_f32_e32 v55, v61, v0
	;; [unrolled: 1-line block ×3, first 2 shown]
	v_mul_u32_u24_sdwa v0, v21, v56 dst_sel:DWORD dst_unused:UNUSED_PAD src0_sel:WORD_0 src1_sel:DWORD
	v_lshlrev_b32_sdwa v1, v60, v23 dst_sel:DWORD dst_unused:UNUSED_PAD src0_sel:DWORD src1_sel:BYTE_0
	v_mul_u32_u24_sdwa v20, v20, v56 dst_sel:DWORD dst_unused:UNUSED_PAD src0_sel:WORD_0 src1_sel:DWORD
	v_lshlrev_b32_sdwa v21, v60, v25 dst_sel:DWORD dst_unused:UNUSED_PAD src0_sel:DWORD src1_sel:BYTE_0
	v_fmac_f32_e32 v31, -0.5, v128
	v_add_f32_e32 v106, v45, v38
	v_add3_u32 v25, 0, v0, v1
	v_mul_u32_u24_sdwa v0, v74, v56 dst_sel:DWORD dst_unused:UNUSED_PAD src0_sel:WORD_0 src1_sel:DWORD
	v_lshlrev_b32_sdwa v1, v60, v75 dst_sel:DWORD dst_unused:UNUSED_PAD src0_sel:DWORD src1_sel:BYTE_0
	v_add3_u32 v20, 0, v20, v21
	v_sub_f32_e32 v38, v45, v38
	v_fmamk_f32 v45, v129, 0xbf5db3d7, v31
	v_fmac_f32_e32 v31, 0x3f5db3d7, v129
	v_add3_u32 v21, 0, v0, v1
	v_mul_u32_u24_sdwa v0, v19, v56 dst_sel:DWORD dst_unused:UNUSED_PAD src0_sel:WORD_0 src1_sel:DWORD
	v_lshlrev_b32_sdwa v1, v60, v22 dst_sel:DWORD dst_unused:UNUSED_PAD src0_sel:DWORD src1_sel:BYTE_0
	v_fmac_f32_e32 v100, 0.5, v51
	v_mul_f32_e32 v33, 0.5, v33
	s_barrier
	buffer_gl0_inv
	ds_write2_b32 v25, v89, v92 offset1:10
	ds_write2_b32 v25, v95, v40 offset0:20 offset1:30
	ds_write2_b32 v25, v87, v28 offset0:40 offset1:50
	ds_write2_b32 v20, v50, v2 offset1:10
	ds_write2_b32 v20, v90, v42 offset0:20 offset1:30
	ds_write2_b32 v20, v49, v29 offset0:40 offset1:50
	ds_write2_b32 v21, v98, v3 offset1:10
	ds_write2_b32 v21, v91, v34 offset0:20 offset1:30
	v_mul_u32_u24_e32 v2, 0xf0, v17
	v_lshlrev_b32_sdwa v3, v60, v18 dst_sel:DWORD dst_unused:UNUSED_PAD src0_sel:DWORD src1_sel:WORD_0
	v_add3_u32 v17, 0, v0, v1
	v_mul_u32_u24_e32 v0, 0xf0, v10
	v_lshlrev_b32_sdwa v1, v60, v11 dst_sel:DWORD dst_unused:UNUSED_PAD src0_sel:DWORD src1_sel:WORD_0
	v_add_f32_e32 v48, v45, v100
	v_add_f32_e32 v51, v31, v104
	v_sub_f32_e32 v45, v45, v100
	v_sub_f32_e32 v31, v31, v104
	v_add_f32_e32 v115, v52, v93
	v_fmac_f32_e32 v33, 0x3f5db3d7, v80
	v_add_f32_e32 v86, v85, v44
	v_add3_u32 v18, 0, v2, v3
	v_sub_f32_e32 v52, v52, v93
	v_add_f32_e32 v80, v26, v84
	v_sub_f32_e32 v44, v85, v44
	v_sub_f32_e32 v26, v26, v84
	v_add_f32_e32 v78, v81, v41
	v_add3_u32 v19, 0, v0, v1
	v_add_f32_e32 v120, v83, v33
	v_sub_f32_e32 v33, v83, v33
	v_sub_f32_e32 v41, v81, v41
	ds_write2_b32 v21, v47, v30 offset0:40 offset1:50
	ds_write2_b32 v17, v99, v48 offset1:10
	ds_write2_b32 v17, v51, v35 offset0:20 offset1:30
	ds_write2_b32 v17, v45, v31 offset0:40 offset1:50
	ds_write2_b32 v18, v86, v77 offset1:10
	ds_write2_b32 v18, v80, v44 offset0:20 offset1:30
	;; [unrolled: 3-line block ×3, first 2 shown]
	ds_write2_b32 v19, v54, v27 offset0:40 offset1:50
	s_waitcnt lgkmcnt(0)
	s_barrier
	buffer_gl0_inv
	ds_read2_b32 v[10:11], v62 offset1:60
	ds_read2_b32 v[22:23], v64 offset0:104 offset1:164
	ds_read2_b32 v[59:60], v24 offset0:80 offset1:140
	;; [unrolled: 1-line block ×17, first 2 shown]
	s_waitcnt lgkmcnt(0)
	s_barrier
	buffer_gl0_inv
	ds_write2_b32 v25, v53, v115 offset1:10
	ds_write2_b32 v25, v116, v36 offset0:20 offset1:30
	ds_write2_b32 v25, v52, v107 offset0:40 offset1:50
	ds_write2_b32 v20, v105, v109 offset1:10
	ds_write2_b32 v20, v117, v37 offset0:20 offset1:30
	ds_write2_b32 v20, v110, v111 offset0:40 offset1:50
	;; [unrolled: 3-line block ×4, first 2 shown]
	ds_write2_b32 v18, v113, v120 offset1:10
	v_mul_u32_u24_e32 v8, 5, v102
	ds_write2_b32 v18, v121, v46 offset0:20 offset1:30
	ds_write2_b32 v18, v33, v122 offset0:40 offset1:50
	ds_write2_b32 v19, v123, v124 offset1:10
	ds_write2_b32 v19, v125, v43 offset0:20 offset1:30
	v_mul_lo_u16 v9, 0x89, v14
	ds_write2_b32 v19, v55, v58 offset0:40 offset1:50
	s_waitcnt lgkmcnt(0)
	v_lshlrev_b32_e32 v46, 3, v8
	v_mul_lo_u16 v8, 0x89, v16
	v_lshrrev_b16 v9, 13, v9
	s_barrier
	buffer_gl0_inv
	s_clause 0x1
	global_load_dwordx4 v[18:21], v46, s[12:13] offset:400
	global_load_dwordx4 v[25:28], v46, s[12:13] offset:416
	v_lshrrev_b16 v8, 13, v8
	v_mul_lo_u16 v9, v9, 60
	global_load_dwordx2 v[105:106], v46, s[12:13] offset:432
	v_mul_lo_u16 v8, v8, 60
	v_sub_nc_u16 v8, v15, v8
	v_and_b32_e32 v15, 0xff, v8
	v_sub_nc_u16 v8, v12, v9
	v_mov_b32_e32 v12, 0x8889
	v_mul_u32_u24_e32 v9, 5, v15
	v_and_b32_e32 v14, 0xff, v8
	v_mul_u32_u24_sdwa v16, v13, v12 dst_sel:DWORD dst_unused:UNUSED_PAD src0_sel:WORD_0 src1_sel:DWORD
	v_lshl_add_u32 v15, v15, 2, 0
	v_lshlrev_b32_e32 v8, 3, v9
	v_mul_u32_u24_e32 v9, 5, v14
	v_lshrrev_b32_e32 v16, 21, v16
	s_clause 0x1
	global_load_dwordx4 v[29:32], v8, s[12:13] offset:400
	global_load_dwordx4 v[37:40], v8, s[12:13] offset:416
	v_lshlrev_b32_e32 v9, 3, v9
	v_mul_lo_u16 v16, v16, 60
	global_load_dwordx2 v[107:108], v8, s[12:13] offset:432
	v_mul_u32_u24_sdwa v8, v63, v12 dst_sel:DWORD dst_unused:UNUSED_PAD src0_sel:WORD_0 src1_sel:DWORD
	global_load_dwordx4 v[33:36], v9, s[12:13] offset:400
	v_sub_nc_u16 v13, v13, v16
	s_clause 0x1
	global_load_dwordx4 v[41:44], v9, s[12:13] offset:416
	global_load_dwordx2 v[109:110], v9, s[12:13] offset:432
	v_lshrrev_b32_e32 v8, 21, v8
	v_and_b32_e32 v16, 0xffff, v13
	v_mul_lo_u16 v8, v8, 60
	v_mul_u32_u24_e32 v13, 5, v16
	v_sub_nc_u16 v8, v63, v8
	v_lshlrev_b32_e32 v9, 3, v13
	v_and_b32_e32 v17, 0xffff, v8
	s_clause 0x1
	global_load_dwordx4 v[47:50], v9, s[12:13] offset:400
	global_load_dwordx4 v[51:54], v9, s[12:13] offset:416
	v_mul_u32_u24_e32 v8, 5, v17
	v_lshlrev_b32_e32 v8, 3, v8
	s_clause 0x3
	global_load_dwordx2 v[111:112], v9, s[12:13] offset:432
	global_load_dwordx4 v[55:58], v8, s[12:13] offset:400
	global_load_dwordx4 v[74:77], v8, s[12:13] offset:416
	global_load_dwordx2 v[113:114], v8, s[12:13] offset:432
	ds_read2_b32 v[115:116], v64 offset0:104 offset1:164
	ds_read2_b32 v[117:118], v24 offset0:80 offset1:140
	ds_read2_b32 v[119:120], v62 offset1:60
	ds_read2_b32 v[121:122], v67 offset0:56 offset1:116
	ds_read2_b32 v[123:124], v66 offset0:160 offset1:220
	;; [unrolled: 1-line block ×12, first 2 shown]
	s_waitcnt vmcnt(14) lgkmcnt(14)
	v_mul_f32_e32 v45, v115, v19
	v_mul_f32_e32 v61, v116, v19
	;; [unrolled: 1-line block ×4, first 2 shown]
	s_waitcnt lgkmcnt(13)
	v_mul_f32_e32 v142, v117, v21
	v_fmac_f32_e32 v45, v22, v18
	v_fmac_f32_e32 v61, v23, v18
	v_mul_f32_e32 v23, v59, v21
	v_mul_f32_e32 v143, v118, v21
	v_fma_f32 v115, v115, v18, -v141
	v_fma_f32 v116, v116, v18, -v19
	v_mul_f32_e32 v18, v60, v21
	v_fmac_f32_e32 v142, v59, v20
	v_fmac_f32_e32 v143, v60, v20
	v_fma_f32 v23, v117, v20, -v23
	s_waitcnt vmcnt(13) lgkmcnt(11)
	v_mul_f32_e32 v60, v121, v26
	v_fma_f32 v59, v118, v20, -v18
	v_mul_f32_e32 v117, v122, v26
	v_mul_f32_e32 v18, v78, v26
	s_waitcnt lgkmcnt(10)
	v_mul_f32_e32 v118, v123, v28
	v_mul_f32_e32 v26, v79, v26
	v_fmac_f32_e32 v60, v78, v25
	v_fmac_f32_e32 v117, v79, v25
	v_mul_f32_e32 v78, v80, v28
	v_mul_f32_e32 v79, v124, v28
	v_fma_f32 v121, v121, v25, -v18
	v_mul_f32_e32 v18, v81, v28
	ds_read2_b32 v[21:22], v66 offset0:40 offset1:100
	ds_read2_b32 v[19:20], v72 offset0:144 offset1:204
	v_fmac_f32_e32 v118, v80, v27
	v_fmac_f32_e32 v79, v81, v27
	v_fma_f32 v78, v123, v27, -v78
	s_waitcnt vmcnt(11) lgkmcnt(9)
	v_mul_f32_e32 v28, v127, v30
	v_fma_f32 v27, v124, v27, -v18
	v_mul_f32_e32 v18, v84, v30
	s_waitcnt lgkmcnt(8)
	v_mul_f32_e32 v30, v129, v32
	v_mul_f32_e32 v32, v86, v32
	v_fma_f32 v122, v122, v25, -v26
	ds_read2_b32 v[25:26], v73 offset0:120 offset1:180
	s_waitcnt vmcnt(8)
	v_mul_f32_e32 v80, v128, v34
	v_mul_f32_e32 v34, v85, v34
	;; [unrolled: 1-line block ×3, first 2 shown]
	v_fmac_f32_e32 v28, v84, v29
	v_fma_f32 v29, v127, v29, -v18
	v_fmac_f32_e32 v30, v86, v31
	v_fma_f32 v31, v129, v31, -v32
	v_mul_f32_e32 v18, v87, v36
	s_waitcnt lgkmcnt(8)
	v_mul_f32_e32 v32, v131, v38
	v_mul_f32_e32 v36, v88, v38
	s_waitcnt lgkmcnt(7)
	v_mul_f32_e32 v38, v133, v40
	v_mul_f32_e32 v40, v90, v40
	v_fmac_f32_e32 v80, v85, v33
	s_waitcnt vmcnt(7)
	v_mul_f32_e32 v84, v132, v42
	v_fma_f32 v33, v128, v33, -v34
	v_mul_f32_e32 v34, v89, v42
	v_mul_f32_e32 v42, v134, v44
	v_fmac_f32_e32 v81, v87, v35
	v_mul_f32_e32 v44, v91, v44
	v_fma_f32 v35, v130, v35, -v18
	v_mul_f32_e32 v18, v82, v106
	v_mul_f32_e32 v86, v126, v106
	v_fmac_f32_e32 v32, v88, v37
	v_fma_f32 v36, v131, v37, -v36
	v_fma_f32 v37, v133, v39, -v40
	s_waitcnt vmcnt(5) lgkmcnt(4)
	v_mul_f32_e32 v40, v137, v48
	v_mul_f32_e32 v48, v94, v48
	;; [unrolled: 1-line block ×3, first 2 shown]
	v_fmac_f32_e32 v84, v89, v41
	v_fma_f32 v34, v132, v41, -v34
	v_fmac_f32_e32 v42, v91, v43
	v_fma_f32 v41, v134, v43, -v44
	;; [unrolled: 2-line block ×3, first 2 shown]
	v_fmac_f32_e32 v40, v94, v47
	v_mul_f32_e32 v18, v96, v50
	v_fma_f32 v83, v137, v47, -v48
	s_waitcnt vmcnt(4)
	v_mul_f32_e32 v47, v98, v52
	v_fmac_f32_e32 v38, v90, v39
	v_fma_f32 v44, v126, v105, -v87
	s_waitcnt lgkmcnt(2)
	v_mul_f32_e32 v87, v21, v52
	v_fma_f32 v89, v139, v49, -v18
	s_waitcnt lgkmcnt(1)
	v_mul_f32_e32 v90, v19, v54
	v_mul_f32_e32 v18, v100, v54
	v_fma_f32 v21, v21, v51, -v47
	s_waitcnt vmcnt(3)
	v_mul_f32_e32 v47, v103, v112
	s_waitcnt lgkmcnt(0)
	v_mul_f32_e32 v54, v25, v112
	v_fmac_f32_e32 v90, v100, v53
	v_fma_f32 v53, v19, v53, -v18
	s_waitcnt vmcnt(2)
	v_mul_f32_e32 v18, v138, v56
	v_mul_f32_e32 v19, v95, v56
	v_fma_f32 v25, v25, v111, -v47
	v_mul_f32_e32 v56, v140, v58
	v_mul_f32_e32 v47, v97, v58
	;; [unrolled: 1-line block ×3, first 2 shown]
	s_waitcnt vmcnt(1)
	v_mul_f32_e32 v48, v99, v75
	v_mul_f32_e32 v58, v20, v77
	v_fmac_f32_e32 v56, v97, v57
	v_fma_f32 v57, v140, v57, -v47
	v_mul_f32_e32 v47, v101, v77
	v_mul_f32_e32 v85, v125, v106
	v_fmac_f32_e32 v88, v96, v49
	v_fmac_f32_e32 v18, v95, v55
	v_fma_f32 v19, v138, v55, -v19
	v_fma_f32 v20, v20, v76, -v47
	v_add_f32_e32 v47, v142, v118
	v_mul_f32_e32 v55, v22, v75
	v_fma_f32 v22, v22, v74, -v48
	s_waitcnt vmcnt(0)
	v_mul_f32_e32 v48, v104, v114
	v_add_f32_e32 v49, v10, v142
	v_fma_f32 v10, -0.5, v47, v10
	v_sub_f32_e32 v47, v23, v78
	v_fmac_f32_e32 v85, v82, v105
	v_fmac_f32_e32 v87, v98, v51
	;; [unrolled: 1-line block ×3, first 2 shown]
	v_mul_f32_e32 v74, v26, v114
	v_fma_f32 v26, v26, v113, -v48
	v_add_f32_e32 v48, v23, v78
	v_fmamk_f32 v51, v47, 0xbf5db3d7, v10
	v_fmac_f32_e32 v10, 0x3f5db3d7, v47
	v_add_f32_e32 v47, v121, v43
	v_fmac_f32_e32 v58, v101, v76
	v_add_f32_e32 v50, v49, v118
	v_fma_f32 v52, -0.5, v48, v119
	v_sub_f32_e32 v48, v142, v118
	v_add_f32_e32 v49, v60, v85
	v_add_f32_e32 v76, v115, v121
	v_fmac_f32_e32 v115, -0.5, v47
	v_sub_f32_e32 v47, v60, v85
	v_add_f32_e32 v23, v119, v23
	v_fmamk_f32 v75, v48, 0x3f5db3d7, v52
	v_add_f32_e32 v60, v45, v60
	v_fmac_f32_e32 v45, -0.5, v49
	v_sub_f32_e32 v49, v121, v43
	v_fmac_f32_e32 v52, 0xbf5db3d7, v48
	v_fmamk_f32 v48, v47, 0x3f5db3d7, v115
	v_add_f32_e32 v23, v23, v78
	v_fmac_f32_e32 v115, 0xbf5db3d7, v47
	v_add_f32_e32 v60, v60, v85
	v_fmamk_f32 v47, v49, 0xbf5db3d7, v45
	v_mul_f32_e32 v77, 0xbf5db3d7, v48
	v_add_f32_e32 v43, v76, v43
	v_mul_f32_e32 v76, 0.5, v48
	v_add_f32_e32 v91, v50, v60
	v_sub_f32_e32 v60, v50, v60
	v_fmac_f32_e32 v77, 0.5, v47
	v_sub_f32_e32 v50, v23, v43
	v_fmac_f32_e32 v76, 0x3f5db3d7, v47
	v_add_f32_e32 v47, v23, v43
	v_add_f32_e32 v23, v143, v79
	v_fmac_f32_e32 v45, 0x3f5db3d7, v49
	v_mul_f32_e32 v78, 0xbf5db3d7, v115
	v_mul_f32_e32 v85, -0.5, v115
	v_add_f32_e32 v43, v11, v143
	v_fmac_f32_e32 v11, -0.5, v23
	v_sub_f32_e32 v23, v59, v27
	v_mul_f32_e32 v106, v135, v108
	v_fmac_f32_e32 v78, -0.5, v45
	v_fmac_f32_e32 v85, 0x3f5db3d7, v45
	v_add_f32_e32 v45, v51, v77
	v_add_f32_e32 v48, v75, v76
	v_sub_f32_e32 v77, v51, v77
	v_sub_f32_e32 v51, v75, v76
	v_add_f32_e32 v75, v59, v27
	v_fmamk_f32 v76, v23, 0xbf5db3d7, v11
	v_fmac_f32_e32 v11, 0x3f5db3d7, v23
	v_add_f32_e32 v23, v122, v44
	v_mul_f32_e32 v108, v92, v108
	v_fmac_f32_e32 v106, v92, v107
	v_add_f32_e32 v92, v10, v78
	v_sub_f32_e32 v10, v10, v78
	v_add_f32_e32 v43, v43, v79
	v_add_f32_e32 v59, v120, v59
	v_fmac_f32_e32 v120, -0.5, v75
	v_sub_f32_e32 v75, v143, v79
	v_add_f32_e32 v78, v117, v86
	v_add_f32_e32 v79, v116, v122
	v_fmac_f32_e32 v116, -0.5, v23
	v_sub_f32_e32 v23, v117, v86
	v_add_f32_e32 v49, v52, v85
	v_sub_f32_e32 v52, v52, v85
	v_add_f32_e32 v27, v59, v27
	v_fmamk_f32 v59, v75, 0x3f5db3d7, v120
	v_add_f32_e32 v85, v61, v117
	v_fmac_f32_e32 v61, -0.5, v78
	v_sub_f32_e32 v78, v122, v44
	v_fmac_f32_e32 v120, 0xbf5db3d7, v75
	v_fmamk_f32 v75, v23, 0x3f5db3d7, v116
	v_fmac_f32_e32 v116, 0xbf5db3d7, v23
	v_add_f32_e32 v23, v85, v86
	v_fmamk_f32 v85, v78, 0xbf5db3d7, v61
	v_fmac_f32_e32 v61, 0x3f5db3d7, v78
	v_mul_f32_e32 v78, 0xbf5db3d7, v75
	v_mul_f32_e32 v123, v136, v110
	;; [unrolled: 1-line block ×3, first 2 shown]
	v_add_f32_e32 v44, v79, v44
	v_mul_f32_e32 v79, -0.5, v116
	v_fmac_f32_e32 v78, 0.5, v85
	v_mul_f32_e32 v39, v93, v110
	v_fmac_f32_e32 v123, v93, v109
	v_fmac_f32_e32 v86, -0.5, v61
	v_add_f32_e32 v93, v43, v23
	v_fmac_f32_e32 v79, 0x3f5db3d7, v61
	v_add_f32_e32 v61, v76, v78
	v_add_f32_e32 v94, v27, v44
	v_sub_f32_e32 v23, v43, v23
	v_sub_f32_e32 v43, v76, v78
	;; [unrolled: 1-line block ×3, first 2 shown]
	v_add_f32_e32 v27, v30, v38
	v_fma_f32 v82, v135, v107, -v108
	v_mul_f32_e32 v75, 0.5, v75
	v_add_f32_e32 v44, v2, v30
	v_add_f32_e32 v78, v31, v37
	v_fma_f32 v2, -0.5, v27, v2
	v_sub_f32_e32 v27, v31, v37
	v_fmac_f32_e32 v75, 0x3f5db3d7, v85
	v_add_f32_e32 v44, v44, v38
	v_sub_f32_e32 v30, v30, v38
	v_add_f32_e32 v96, v120, v79
	v_fmamk_f32 v38, v27, 0xbf5db3d7, v2
	v_fmac_f32_e32 v2, 0x3f5db3d7, v27
	v_add_f32_e32 v27, v36, v82
	v_add_f32_e32 v95, v59, v75
	v_sub_f32_e32 v59, v59, v75
	v_sub_f32_e32 v75, v120, v79
	v_add_f32_e32 v31, v12, v31
	v_fma_f32 v12, -0.5, v78, v12
	v_add_f32_e32 v78, v32, v106
	v_add_f32_e32 v79, v29, v36
	v_fmac_f32_e32 v29, -0.5, v27
	v_sub_f32_e32 v27, v32, v106
	v_add_f32_e32 v31, v31, v37
	v_fmamk_f32 v37, v30, 0x3f5db3d7, v12
	v_add_f32_e32 v32, v28, v32
	v_fmac_f32_e32 v28, -0.5, v78
	v_sub_f32_e32 v36, v36, v82
	v_fmac_f32_e32 v12, 0xbf5db3d7, v30
	v_fmamk_f32 v30, v27, 0x3f5db3d7, v29
	v_fmac_f32_e32 v29, 0xbf5db3d7, v27
	v_add_f32_e32 v27, v32, v106
	v_fmamk_f32 v32, v36, 0xbf5db3d7, v28
	v_fmac_f32_e32 v28, 0x3f5db3d7, v36
	v_mul_f32_e32 v36, 0xbf5db3d7, v30
	v_mul_f32_e32 v78, 0xbf5db3d7, v29
	v_add_f32_e32 v79, v79, v82
	v_mul_f32_e32 v30, 0.5, v30
	v_mul_f32_e32 v29, -0.5, v29
	v_add_f32_e32 v85, v11, v86
	v_fmac_f32_e32 v78, -0.5, v28
	v_sub_f32_e32 v11, v11, v86
	v_fmac_f32_e32 v36, 0.5, v32
	v_fmac_f32_e32 v30, 0x3f5db3d7, v32
	v_fmac_f32_e32 v29, 0x3f5db3d7, v28
	v_add_f32_e32 v32, v2, v78
	v_add_f32_e32 v86, v31, v79
	v_sub_f32_e32 v2, v2, v78
	v_sub_f32_e32 v78, v31, v79
	v_add_f32_e32 v31, v81, v42
	v_fma_f32 v39, v136, v109, -v39
	v_add_f32_e32 v97, v37, v30
	v_add_f32_e32 v98, v12, v29
	v_sub_f32_e32 v79, v37, v30
	v_add_f32_e32 v30, v3, v81
	v_sub_f32_e32 v99, v12, v29
	v_fmac_f32_e32 v3, -0.5, v31
	v_sub_f32_e32 v29, v35, v41
	v_add_f32_e32 v12, v35, v41
	v_add_f32_e32 v31, v13, v35
	;; [unrolled: 1-line block ×3, first 2 shown]
	v_sub_f32_e32 v36, v38, v36
	v_fmamk_f32 v35, v29, 0xbf5db3d7, v3
	v_fmac_f32_e32 v3, 0x3f5db3d7, v29
	v_add_f32_e32 v29, v34, v39
	v_fmac_f32_e32 v13, -0.5, v12
	v_sub_f32_e32 v12, v81, v42
	v_add_f32_e32 v31, v31, v41
	v_add_f32_e32 v38, v84, v123
	;; [unrolled: 1-line block ×3, first 2 shown]
	v_fmac_f32_e32 v33, -0.5, v29
	v_sub_f32_e32 v29, v84, v123
	v_add_f32_e32 v30, v30, v42
	v_fmamk_f32 v37, v12, 0x3f5db3d7, v13
	v_add_f32_e32 v42, v80, v84
	v_fmac_f32_e32 v80, -0.5, v38
	v_sub_f32_e32 v34, v34, v39
	v_fmac_f32_e32 v13, 0xbf5db3d7, v12
	v_fmamk_f32 v12, v29, 0x3f5db3d7, v33
	v_fmac_f32_e32 v33, 0xbf5db3d7, v29
	v_add_f32_e32 v29, v42, v123
	v_fmamk_f32 v38, v34, 0xbf5db3d7, v80
	v_fmac_f32_e32 v80, 0x3f5db3d7, v34
	v_mul_f32_e32 v34, 0xbf5db3d7, v12
	v_mul_f32_e32 v42, 0xbf5db3d7, v33
	v_add_f32_e32 v39, v41, v39
	v_mul_f32_e32 v12, 0.5, v12
	v_mul_f32_e32 v33, -0.5, v33
	v_fmac_f32_e32 v34, 0.5, v38
	v_fmac_f32_e32 v42, -0.5, v80
	v_sub_f32_e32 v100, v31, v39
	v_fmac_f32_e32 v12, 0x3f5db3d7, v38
	v_fmac_f32_e32 v33, 0x3f5db3d7, v80
	v_add_f32_e32 v80, v31, v39
	v_add_f32_e32 v31, v88, v90
	v_fmac_f32_e32 v54, v103, v111
	v_add_f32_e32 v81, v37, v12
	v_sub_f32_e32 v101, v37, v12
	v_add_f32_e32 v12, v0, v88
	v_fma_f32 v0, -0.5, v31, v0
	v_sub_f32_e32 v31, v89, v53
	v_add_f32_e32 v41, v30, v29
	v_add_f32_e32 v38, v35, v34
	;; [unrolled: 1-line block ×3, first 2 shown]
	v_sub_f32_e32 v29, v30, v29
	v_sub_f32_e32 v30, v35, v34
	;; [unrolled: 1-line block ×3, first 2 shown]
	v_add_f32_e32 v13, v89, v53
	v_fmamk_f32 v34, v31, 0xbf5db3d7, v0
	v_fmac_f32_e32 v0, 0x3f5db3d7, v31
	v_add_f32_e32 v31, v21, v25
	v_add_f32_e32 v33, v8, v89
	v_fma_f32 v8, -0.5, v13, v8
	v_sub_f32_e32 v13, v88, v90
	v_add_f32_e32 v37, v87, v54
	v_add_f32_e32 v39, v83, v21
	v_fmac_f32_e32 v83, -0.5, v31
	v_sub_f32_e32 v31, v87, v54
	v_add_f32_e32 v82, v44, v27
	v_sub_f32_e32 v27, v44, v27
	v_add_f32_e32 v44, v3, v42
	v_sub_f32_e32 v3, v3, v42
	v_fmamk_f32 v35, v13, 0x3f5db3d7, v8
	v_add_f32_e32 v42, v40, v87
	v_fmac_f32_e32 v40, -0.5, v37
	v_sub_f32_e32 v21, v21, v25
	v_fmac_f32_e32 v8, 0xbf5db3d7, v13
	v_fmamk_f32 v13, v31, 0x3f5db3d7, v83
	v_add_f32_e32 v33, v33, v53
	v_add_f32_e32 v25, v39, v25
	v_fmamk_f32 v37, v21, 0xbf5db3d7, v40
	v_fmac_f32_e32 v40, 0x3f5db3d7, v21
	v_mul_f32_e32 v21, 0xbf5db3d7, v13
	v_mul_f32_e32 v13, 0.5, v13
	v_fmac_f32_e32 v83, 0xbf5db3d7, v31
	v_add_f32_e32 v31, v42, v54
	v_add_f32_e32 v54, v33, v25
	v_sub_f32_e32 v88, v33, v25
	v_fmac_f32_e32 v13, 0x3f5db3d7, v37
	v_add_f32_e32 v25, v56, v58
	v_add_f32_e32 v12, v12, v90
	v_mul_f32_e32 v42, 0xbf5db3d7, v83
	v_mul_f32_e32 v39, -0.5, v83
	v_fmac_f32_e32 v21, 0.5, v37
	v_add_f32_e32 v83, v35, v13
	v_sub_f32_e32 v89, v35, v13
	v_add_f32_e32 v13, v1, v56
	v_fmac_f32_e32 v1, -0.5, v25
	v_sub_f32_e32 v25, v57, v20
	v_fmac_f32_e32 v74, v104, v113
	v_add_f32_e32 v53, v12, v31
	v_fmac_f32_e32 v39, 0x3f5db3d7, v40
	v_add_f32_e32 v37, v34, v21
	v_sub_f32_e32 v12, v12, v31
	v_sub_f32_e32 v21, v34, v21
	v_add_f32_e32 v31, v57, v20
	v_fmamk_f32 v34, v25, 0xbf5db3d7, v1
	v_fmac_f32_e32 v1, 0x3f5db3d7, v25
	v_add_f32_e32 v25, v22, v26
	v_fmac_f32_e32 v42, -0.5, v40
	v_add_f32_e32 v87, v8, v39
	v_sub_f32_e32 v8, v8, v39
	v_add_f32_e32 v33, v9, v57
	v_fmac_f32_e32 v9, -0.5, v31
	v_sub_f32_e32 v31, v56, v58
	v_add_f32_e32 v35, v55, v74
	v_add_f32_e32 v39, v19, v22
	v_fmac_f32_e32 v19, -0.5, v25
	v_sub_f32_e32 v25, v55, v74
	v_add_f32_e32 v40, v0, v42
	v_sub_f32_e32 v0, v0, v42
	v_add_f32_e32 v20, v33, v20
	v_fmamk_f32 v33, v31, 0x3f5db3d7, v9
	v_add_f32_e32 v42, v18, v55
	v_fmac_f32_e32 v18, -0.5, v35
	v_sub_f32_e32 v22, v22, v26
	v_fmac_f32_e32 v9, 0xbf5db3d7, v31
	v_fmamk_f32 v31, v25, 0x3f5db3d7, v19
	v_fmac_f32_e32 v19, 0xbf5db3d7, v25
	s_barrier
	buffer_gl0_inv
	ds_write2_b32 v62, v91, v45 offset1:60
	ds_write2_b32 v62, v92, v60 offset0:120 offset1:180
	ds_write2_b32 v70, v77, v10 offset0:112 offset1:172
	;; [unrolled: 1-line block ×3, first 2 shown]
	v_lshl_add_u32 v10, v14, 2, 0
	v_fmamk_f32 v35, v22, 0xbf5db3d7, v18
	v_fmac_f32_e32 v18, 0x3f5db3d7, v22
	v_mul_f32_e32 v22, 0xbf5db3d7, v31
	v_add_nc_u32_e32 v60, 0xa00, v15
	v_add_nc_u32_e32 v61, 0xc00, v15
	v_add_f32_e32 v25, v42, v74
	v_mul_f32_e32 v42, 0xbf5db3d7, v19
	v_add_nc_u32_e32 v77, 0x1000, v10
	ds_write2_b32 v65, v85, v23 offset0:96 offset1:156
	ds_write2_b32 v71, v43, v11 offset0:88 offset1:148
	v_lshl_add_u32 v11, v16, 2, 0
	v_mul_f32_e32 v31, 0.5, v31
	v_mul_f32_e32 v19, -0.5, v19
	v_add_f32_e32 v13, v13, v58
	v_fmac_f32_e32 v22, 0.5, v35
	ds_write2_b32 v60, v82, v28 offset0:80 offset1:140
	ds_write2_b32 v61, v32, v27 offset0:72 offset1:132
	ds_write2_b32 v61, v36, v2 offset0:192 offset1:252
	ds_write2_b32 v77, v41, v38 offset0:56 offset1:116
	v_add_nc_u32_e32 v2, 0x1400, v10
	v_lshl_add_u32 v10, v17, 2, 0
	v_fmac_f32_e32 v42, -0.5, v18
	v_add_nc_u32_e32 v82, 0x1400, v11
	v_add_f32_e32 v26, v39, v26
	v_fmac_f32_e32 v31, 0x3f5db3d7, v35
	v_fmac_f32_e32 v19, 0x3f5db3d7, v18
	v_add_nc_u32_e32 v85, 0x1800, v11
	v_add_f32_e32 v39, v13, v25
	v_add_f32_e32 v18, v34, v22
	ds_write2_b32 v2, v30, v3 offset0:40 offset1:100
	v_add_nc_u32_e32 v3, 0x1c00, v10
	v_add_f32_e32 v35, v1, v42
	v_sub_f32_e32 v13, v13, v25
	v_sub_f32_e32 v22, v34, v22
	;; [unrolled: 1-line block ×3, first 2 shown]
	ds_write2_b32 v82, v53, v37 offset0:160 offset1:220
	v_add_nc_u32_e32 v53, 0x1e00, v10
	v_add_f32_e32 v55, v20, v26
	v_add_f32_e32 v56, v33, v31
	;; [unrolled: 1-line block ×3, first 2 shown]
	v_sub_f32_e32 v58, v20, v26
	v_sub_f32_e32 v74, v33, v31
	;; [unrolled: 1-line block ×3, first 2 shown]
	ds_write2_b32 v77, v44, v29 offset0:176 offset1:236
	ds_write2_b32 v85, v40, v12 offset0:24 offset1:84
	;; [unrolled: 1-line block ×6, first 2 shown]
	s_waitcnt lgkmcnt(0)
	s_barrier
	buffer_gl0_inv
	ds_read2_b32 v[10:11], v62 offset1:60
	ds_read2_b32 v[16:17], v64 offset0:104 offset1:164
	ds_read2_b32 v[12:13], v24 offset0:80 offset1:140
	;; [unrolled: 1-line block ×17, first 2 shown]
	s_waitcnt lgkmcnt(0)
	s_barrier
	buffer_gl0_inv
	ds_write2_b32 v62, v47, v48 offset1:60
	ds_write2_b32 v62, v49, v50 offset0:120 offset1:180
	ds_write2_b32 v70, v51, v52 offset0:112 offset1:172
	ds_write2_b32 v64, v94, v95 offset0:104 offset1:164
	ds_write2_b32 v65, v96, v76 offset0:96 offset1:156
	ds_write2_b32 v71, v59, v75 offset0:88 offset1:148
	ds_write2_b32 v60, v86, v97 offset0:80 offset1:140
	ds_write2_b32 v61, v98, v78 offset0:72 offset1:132
	ds_write2_b32 v61, v79, v99 offset0:192 offset1:252
	ds_write2_b32 v77, v80, v81 offset0:56 offset1:116
	ds_write2_b32 v77, v84, v100 offset0:176 offset1:236
	ds_write2_b32 v2, v101, v103 offset0:40 offset1:100
	ds_write2_b32 v82, v54, v83 offset0:160 offset1:220
	ds_write2_b32 v85, v87, v88 offset0:24 offset1:84
	ds_write2_b32 v85, v89, v8 offset0:144 offset1:204
	ds_write2_b32 v3, v55, v56 offset0:8 offset1:68
	ds_write2_b32 v3, v57, v58 offset0:128 offset1:188
	ds_write2_b32 v53, v74, v9 offset0:120 offset1:180
	s_waitcnt lgkmcnt(0)
	s_barrier
	buffer_gl0_inv
	s_and_saveexec_b32 s0, vcc_lo
	s_cbranch_execz .LBB0_21
; %bb.20:
	v_mul_u32_u24_e32 v0, 5, v63
	v_mov_b32_e32 v9, 0
	v_mad_u32_u24 v8, v63, 5, 0xfffffed4
	v_add_nc_u32_e32 v91, 0xc00, v62
	v_add_nc_u32_e32 v92, 0x800, v62
	v_lshlrev_b32_e32 v0, 3, v0
	v_add_nc_u32_e32 v93, 0x1e00, v62
	v_lshlrev_b64 v[52:53], 3, v[8:9]
	v_mad_u32_u24 v8, v63, 5, 0xfffffda8
	v_add_nc_u32_e32 v119, 0x600, v62
	v_add_co_u32 v0, s0, s12, v0
	v_add_co_ci_u32_e64 v1, null, s13, 0, s0
	v_lshlrev_b64 v[66:67], 3, v[8:9]
	v_add_co_u32 v54, vcc_lo, 0xaf0, v0
	v_add_co_ci_u32_e32 v55, vcc_lo, 0, v1, vcc_lo
	v_add_co_u32 v47, vcc_lo, 0x800, v0
	v_add_co_ci_u32_e32 v48, vcc_lo, 0, v1, vcc_lo
	s_clause 0x1
	global_load_dwordx4 v[0:3], v[54:55], off offset:16
	global_load_dwordx2 v[60:61], v[54:55], off offset:32
	v_mul_lo_u32 v90, s3, v6
	global_load_dwordx4 v[48:51], v[47:48], off offset:752
	v_add_co_u32 v47, vcc_lo, s12, v52
	v_add_co_ci_u32_e32 v52, vcc_lo, s13, v53, vcc_lo
	v_mul_lo_u32 v94, s2, v7
	v_add_co_u32 v64, vcc_lo, 0xaf0, v47
	v_add_co_ci_u32_e32 v65, vcc_lo, 0, v52, vcc_lo
	v_add_co_u32 v56, vcc_lo, 0x800, v47
	v_add_co_ci_u32_e32 v57, vcc_lo, 0, v52, vcc_lo
	;; [unrolled: 2-line block ×3, first 2 shown]
	s_clause 0x2
	global_load_dwordx4 v[56:59], v[56:57], off offset:752
	global_load_dwordx4 v[52:55], v[64:65], off offset:16
	global_load_dwordx2 v[96:97], v[64:65], off offset:32
	v_add_co_u32 v64, vcc_lo, 0x800, v8
	v_add_co_ci_u32_e32 v65, vcc_lo, 0, v47, vcc_lo
	v_add_co_u32 v72, vcc_lo, 0xaf0, v8
	v_mad_u32_u24 v8, v63, 5, 0xfffffc7c
	v_add_co_ci_u32_e32 v73, vcc_lo, 0, v47, vcc_lo
	s_clause 0x2
	global_load_dwordx4 v[64:67], v[64:65], off offset:752
	global_load_dwordx4 v[68:71], v[72:73], off offset:16
	global_load_dwordx2 v[98:99], v[72:73], off offset:32
	v_lshlrev_b64 v[72:73], 3, v[8:9]
	v_add_nc_u32_e32 v133, 0x1000, v62
	v_add_nc_u32_e32 v134, 0x1c00, v62
	;; [unrolled: 1-line block ×4, first 2 shown]
	v_lshlrev_b64 v[4:5], 3, v[4:5]
	v_add_co_u32 v8, vcc_lo, s12, v72
	v_add_co_ci_u32_e32 v47, vcc_lo, s13, v73, vcc_lo
	v_add_co_u32 v72, vcc_lo, 0x800, v8
	v_add_co_ci_u32_e32 v73, vcc_lo, 0, v47, vcc_lo
	;; [unrolled: 2-line block ×3, first 2 shown]
	s_clause 0x2
	global_load_dwordx4 v[72:75], v[72:73], off offset:752
	global_load_dwordx4 v[76:79], v[80:81], off offset:16
	global_load_dwordx2 v[100:101], v[80:81], off offset:32
	v_mad_u32_u24 v8, v63, 5, 0xfffffb50
	v_add_nc_u32_e32 v63, 0x1400, v62
	v_lshlrev_b64 v[80:81], 3, v[8:9]
	v_add_co_u32 v8, vcc_lo, s12, v80
	v_add_co_ci_u32_e32 v47, vcc_lo, s13, v81, vcc_lo
	v_add_co_u32 v80, vcc_lo, 0x800, v8
	v_add_co_ci_u32_e32 v81, vcc_lo, 0, v47, vcc_lo
	;; [unrolled: 2-line block ×3, first 2 shown]
	s_clause 0x2
	global_load_dwordx4 v[80:83], v[80:81], off offset:752
	global_load_dwordx4 v[84:87], v[88:89], off offset:16
	global_load_dwordx2 v[103:104], v[88:89], off offset:32
	v_add_nc_u32_e32 v8, 0x1800, v62
	v_add_co_u32 v88, s0, s12, v46
	v_add_co_ci_u32_e64 v89, null, s13, 0, s0
	v_mad_u64_u32 v[46:47], null, s2, v6, 0
	ds_read2_b32 v[6:7], v62 offset0:120 offset1:180
	ds_read2_b32 v[105:106], v8 offset0:144 offset1:204
	;; [unrolled: 1-line block ×9, first 2 shown]
	v_add_co_u32 v92, vcc_lo, 0xaf0, v88
	v_add_co_ci_u32_e32 v93, vcc_lo, 0, v89, vcc_lo
	v_add_co_u32 v88, vcc_lo, 0x800, v88
	v_add_co_ci_u32_e32 v89, vcc_lo, 0, v89, vcc_lo
	ds_read2_b32 v[121:122], v133 offset0:176 offset1:236
	ds_read2_b32 v[123:124], v134 offset0:128 offset1:188
	;; [unrolled: 1-line block ×5, first 2 shown]
	v_add3_u32 v47, v47, v94, v90
	s_clause 0x2
	global_load_dwordx4 v[88:91], v[88:89], off offset:752
	global_load_dwordx2 v[131:132], v[92:93], off offset:32
	global_load_dwordx4 v[92:95], v[92:93], off offset:16
	s_waitcnt vmcnt(17) lgkmcnt(11)
	v_mul_f32_e32 v63, v1, v108
	v_mul_f32_e32 v1, v43, v1
	;; [unrolled: 1-line block ×4, first 2 shown]
	s_waitcnt vmcnt(15)
	v_mul_f32_e32 v135, v39, v51
	s_waitcnt lgkmcnt(10)
	v_mul_f32_e32 v51, v110, v51
	v_fmac_f32_e32 v63, v43, v0
	v_fma_f32 v0, v0, v108, -v1
	s_waitcnt lgkmcnt(9)
	v_mul_f32_e32 v1, v49, v112
	v_fma_f32 v8, v2, v106, -v8
	v_fmac_f32_e32 v3, v45, v2
	v_mul_f32_e32 v2, v37, v49
	s_waitcnt lgkmcnt(8)
	v_mul_f32_e32 v43, v61, v114
	v_mul_f32_e32 v45, v41, v61
	v_fmac_f32_e32 v51, v39, v50
	v_fmac_f32_e32 v1, v37, v48
	v_fma_f32 v49, v50, v110, -v135
	v_fma_f32 v2, v48, v112, -v2
	v_fmac_f32_e32 v43, v41, v60
	v_fma_f32 v41, v60, v114, -v45
	s_waitcnt vmcnt(14)
	v_mul_f32_e32 v45, v38, v59
	s_waitcnt vmcnt(13)
	v_mul_f32_e32 v37, v44, v55
	v_mul_f32_e32 v39, v105, v55
	;; [unrolled: 1-line block ×5, first 2 shown]
	v_fma_f32 v37, v54, v105, -v37
	v_mul_f32_e32 v55, v57, v111
	s_waitcnt vmcnt(12)
	v_mul_f32_e32 v59, v97, v113
	v_fmac_f32_e32 v39, v44, v54
	v_mul_f32_e32 v44, v40, v97
	v_mul_f32_e32 v54, v36, v57
	v_fmac_f32_e32 v48, v42, v52
	v_fma_f32 v42, v52, v107, -v50
	v_fma_f32 v45, v58, v109, -v45
	v_fmac_f32_e32 v53, v38, v58
	v_fmac_f32_e32 v55, v36, v56
	;; [unrolled: 1-line block ×3, first 2 shown]
	v_fma_f32 v36, v96, v113, -v44
	v_fma_f32 v38, v56, v111, -v54
	s_waitcnt vmcnt(11)
	v_mul_f32_e32 v40, v33, v67
	s_waitcnt vmcnt(10)
	v_mul_f32_e32 v44, v31, v71
	s_waitcnt lgkmcnt(7)
	v_mul_f32_e32 v50, v116, v67
	s_waitcnt lgkmcnt(6)
	;; [unrolled: 2-line block ×3, first 2 shown]
	v_mul_f32_e32 v56, v69, v122
	s_waitcnt vmcnt(9) lgkmcnt(3)
	v_mul_f32_e32 v57, v99, v124
	v_mul_f32_e32 v58, v27, v69
	;; [unrolled: 1-line block ×5, first 2 shown]
	v_sub_f32_e32 v67, v51, v3
	v_add_f32_e32 v69, v63, v43
	v_sub_f32_e32 v71, v0, v41
	v_add_f32_e32 v96, v0, v41
	v_sub_f32_e32 v97, v63, v43
	s_waitcnt lgkmcnt(2)
	v_add_f32_e32 v99, v126, v49
	v_add_f32_e32 v0, v2, v0
	;; [unrolled: 1-line block ×5, first 2 shown]
	v_fma_f32 v44, v70, v118, -v44
	v_fmac_f32_e32 v52, v31, v70
	v_fmac_f32_e32 v56, v27, v68
	v_fma_f32 v27, v68, v122, -v58
	v_fma_f32 v31, v66, v116, -v40
	v_fmac_f32_e32 v50, v33, v66
	v_fmac_f32_e32 v57, v29, v98
	v_fma_f32 v33, v98, v124, -v60
	v_add_f32_e32 v29, v53, v39
	v_add_f32_e32 v40, v45, v37
	;; [unrolled: 1-line block ×5, first 2 shown]
	v_sub_f32_e32 v49, v49, v8
	v_fmac_f32_e32 v54, v25, v64
	v_fma_f32 v25, v64, v120, -v61
	v_add_f32_e32 v58, v34, v53
	v_sub_f32_e32 v53, v53, v39
	v_add_f32_e32 v61, v125, v45
	v_sub_f32_e32 v64, v42, v36
	v_sub_f32_e32 v68, v48, v59
	v_add_f32_e32 v42, v38, v42
	v_sub_f32_e32 v45, v45, v37
	v_add_f32_e32 v48, v55, v48
	s_waitcnt vmcnt(8)
	v_mul_f32_e32 v70, v32, v75
	s_waitcnt vmcnt(7)
	v_mul_f32_e32 v98, v30, v79
	v_mul_f32_e32 v75, v115, v75
	;; [unrolled: 1-line block ×3, first 2 shown]
	v_fma_f32 v96, -0.5, v96, v2
	v_add_f32_e32 v2, v99, v8
	v_add_f32_e32 v8, v0, v41
	;; [unrolled: 1-line block ×4, first 2 shown]
	v_fma_f32 v51, -0.5, v29, v34
	v_fma_f32 v40, -0.5, v40, v125
	;; [unrolled: 1-line block ×4, first 2 shown]
	v_add_f32_e32 v55, v31, v44
	v_add_f32_e32 v63, v27, v33
	v_mul_f32_e32 v106, v73, v119
	v_mul_f32_e32 v107, v77, v121
	s_waitcnt vmcnt(6)
	v_mul_f32_e32 v108, v101, v123
	v_mul_f32_e32 v77, v26, v77
	;; [unrolled: 1-line block ×3, first 2 shown]
	v_fma_f32 v69, -0.5, v69, v1
	v_add_f32_e32 v37, v61, v37
	v_add_f32_e32 v36, v42, v36
	;; [unrolled: 1-line block ×4, first 2 shown]
	v_fma_f32 v48, v74, v115, -v70
	v_add_f32_e32 v60, v56, v57
	v_sub_f32_e32 v61, v27, v33
	v_fmac_f32_e32 v75, v32, v74
	v_sub_f32_e32 v66, v56, v57
	v_fmac_f32_e32 v79, v30, v78
	v_add_f32_e32 v70, v7, v31
	v_add_f32_e32 v27, v25, v27
	;; [unrolled: 1-line block ×4, first 2 shown]
	v_sub_f32_e32 v1, v2, v8
	v_sub_f32_e32 v0, v41, v43
	v_add_f32_e32 v3, v2, v8
	v_add_f32_e32 v2, v41, v43
	v_fmamk_f32 v8, v53, 0xbf5db3d7, v40
	v_fmamk_f32 v43, v68, 0xbf5db3d7, v38
	v_fmac_f32_e32 v40, 0x3f5db3d7, v53
	v_fmac_f32_e32 v38, 0x3f5db3d7, v68
	v_fmamk_f32 v53, v45, 0x3f5db3d7, v51
	v_fmac_f32_e32 v51, 0xbf5db3d7, v45
	v_fma_f32 v45, -0.5, v55, v7
	v_fma_f32 v7, -0.5, v63, v25
	v_mul_f32_e32 v73, v24, v73
	v_sub_f32_e32 v58, v50, v52
	v_fma_f32 v59, v78, v117, -v98
	v_sub_f32_e32 v78, v31, v44
	v_add_f32_e32 v50, v23, v50
	v_fmac_f32_e32 v106, v24, v72
	v_fmac_f32_e32 v107, v26, v76
	;; [unrolled: 1-line block ×3, first 2 shown]
	v_fma_f32 v24, v76, v121, -v77
	v_fma_f32 v26, v100, v123, -v101
	v_fmamk_f32 v76, v97, 0xbf5db3d7, v96
	v_fmac_f32_e32 v96, 0x3f5db3d7, v97
	v_sub_f32_e32 v29, v39, v42
	v_add_f32_e32 v31, v39, v42
	v_fma_f32 v42, -0.5, v60, v54
	v_add_f32_e32 v27, v27, v33
	v_fma_f32 v54, -0.5, v74, v23
	v_add_f32_e32 v33, v56, v57
	v_add_f32_e32 v57, v75, v79
	v_mul_f32_e32 v74, 0.5, v38
	v_mul_f32_e32 v77, 0xbf5db3d7, v38
	v_fmamk_f32 v38, v66, 0xbf5db3d7, v7
	v_fmac_f32_e32 v7, 0x3f5db3d7, v66
	v_fma_f32 v35, -0.5, v105, v35
	v_fma_f32 v65, -0.5, v65, v126
	v_fma_f32 v28, v72, v119, -v73
	v_fmamk_f32 v73, v71, 0x3f5db3d7, v69
	v_fmac_f32_e32 v69, 0xbf5db3d7, v71
	v_fmamk_f32 v41, v64, 0x3f5db3d7, v34
	v_fmac_f32_e32 v34, 0xbf5db3d7, v64
	v_add_f32_e32 v25, v70, v44
	v_add_f32_e32 v23, v50, v52
	;; [unrolled: 1-line block ×4, first 2 shown]
	v_mul_f32_e32 v63, -0.5, v76
	v_mul_f32_e32 v64, 0.5, v96
	v_mul_f32_e32 v70, 0xbf5db3d7, v96
	v_fmamk_f32 v97, v61, 0x3f5db3d7, v42
	v_fmac_f32_e32 v42, 0xbf5db3d7, v61
	v_fma_f32 v101, -0.5, v57, v22
	v_mul_f32_e32 v57, 0.5, v7
	v_mul_f32_e32 v66, 0xbf5db3d7, v7
	v_fmamk_f32 v72, v67, 0xbf5db3d7, v65
	v_fmac_f32_e32 v65, 0x3f5db3d7, v67
	v_fmamk_f32 v67, v49, 0x3f5db3d7, v35
	v_fmac_f32_e32 v35, 0xbf5db3d7, v49
	v_sub_f32_e32 v50, v24, v26
	v_sub_f32_e32 v55, v107, v108
	v_add_f32_e32 v24, v28, v24
	v_mul_f32_e32 v68, 0xbf5db3d7, v76
	v_mul_f32_e32 v71, -0.5, v43
	v_mul_f32_e32 v76, 0xbf5db3d7, v43
	v_fmamk_f32 v96, v58, 0xbf5db3d7, v45
	v_fmac_f32_e32 v45, 0x3f5db3d7, v58
	v_fmamk_f32 v58, v78, 0x3f5db3d7, v54
	v_fmac_f32_e32 v54, 0xbf5db3d7, v78
	v_fma_f32 v98, -0.5, v39, v106
	v_fma_f32 v52, -0.5, v52, v28
	v_fmac_f32_e32 v63, 0x3f5db3d7, v73
	v_fmac_f32_e32 v64, 0x3f5db3d7, v69
	v_fmac_f32_e32 v70, 0.5, v69
	v_fmac_f32_e32 v77, 0.5, v34
	v_fmac_f32_e32 v57, 0x3f5db3d7, v42
	v_fmac_f32_e32 v66, 0.5, v42
	v_sub_f32_e32 v30, v37, v36
	v_add_f32_e32 v32, v37, v36
	v_add_f32_e32 v36, v48, v59
	;; [unrolled: 1-line block ×3, first 2 shown]
	v_sub_f32_e32 v60, v48, v59
	v_sub_f32_e32 v44, v25, v27
	v_sub_f32_e32 v43, v23, v33
	v_add_f32_e32 v49, v25, v27
	v_add_f32_e32 v48, v23, v33
	;; [unrolled: 1-line block ×3, first 2 shown]
	v_fmac_f32_e32 v68, -0.5, v73
	v_fmac_f32_e32 v71, 0x3f5db3d7, v41
	v_fmac_f32_e32 v76, -0.5, v41
	v_fmamk_f32 v73, v50, 0x3f5db3d7, v98
	v_fmamk_f32 v41, v55, 0xbf5db3d7, v52
	v_fmac_f32_e32 v98, 0xbf5db3d7, v50
	v_fmac_f32_e32 v52, 0x3f5db3d7, v55
	v_sub_f32_e32 v7, v72, v63
	v_sub_f32_e32 v24, v65, v64
	;; [unrolled: 1-line block ×3, first 2 shown]
	v_add_f32_e32 v26, v72, v63
	v_add_f32_e32 v28, v65, v64
	;; [unrolled: 1-line block ×3, first 2 shown]
	v_sub_f32_e32 v35, v51, v77
	v_add_f32_e32 v39, v51, v77
	v_sub_f32_e32 v51, v45, v57
	v_sub_f32_e32 v50, v54, v66
	v_add_f32_e32 v55, v45, v57
	v_add_f32_e32 v54, v54, v66
	v_add_nc_u32_e32 v45, 0x400, v62
	ds_read2_b32 v[63:64], v133 offset0:56 offset1:116
	ds_read2_b32 v[65:66], v134 offset0:8 offset1:68
	v_sub_f32_e32 v37, v75, v79
	v_fma_f32 v78, -0.5, v36, v6
	v_add_f32_e32 v99, v56, v59
	v_fmac_f32_e32 v74, 0x3f5db3d7, v34
	v_mul_f32_e32 v56, -0.5, v38
	v_mul_f32_e32 v59, 0xbf5db3d7, v38
	v_sub_f32_e32 v6, v67, v68
	v_add_f32_e32 v25, v67, v68
	v_sub_f32_e32 v34, v8, v71
	v_add_f32_e32 v38, v8, v71
	v_mul_f32_e32 v8, -0.5, v41
	v_add_f32_e32 v22, v22, v75
	ds_read2_b32 v[67:68], v45 offset0:104 offset1:164
	v_fmamk_f32 v69, v37, 0xbf5db3d7, v78
	v_fmac_f32_e32 v56, 0x3f5db3d7, v97
	v_fmac_f32_e32 v8, 0x3f5db3d7, v73
	v_add_f32_e32 v45, v22, v79
	s_waitcnt vmcnt(5)
	v_mul_f32_e32 v22, v13, v83
	s_waitcnt vmcnt(3)
	v_mul_f32_e32 v72, v21, v104
	v_fmac_f32_e32 v78, 0x3f5db3d7, v37
	v_sub_f32_e32 v57, v69, v8
	v_sub_f32_e32 v33, v53, v76
	s_waitcnt lgkmcnt(4)
	v_fma_f32 v75, v82, v128, -v22
	v_add_f32_e32 v22, v69, v8
	v_mul_f32_e32 v8, v19, v85
	v_add_f32_e32 v37, v53, v76
	v_sub_f32_e32 v42, v96, v56
	v_add_f32_e32 v53, v96, v56
	ds_read2_b32 v[69:70], v62 offset1:60
	s_waitcnt lgkmcnt(3)
	v_mul_f32_e32 v85, v85, v64
	s_waitcnt lgkmcnt(2)
	v_mul_f32_e32 v96, v104, v66
	v_fma_f32 v8, v84, v64, -v8
	v_mul_f32_e32 v64, v17, v81
	v_fma_f32 v66, v103, v66, -v72
	v_fmamk_f32 v105, v60, 0x3f5db3d7, v101
	v_mul_f32_e32 v76, 0xbf5db3d7, v41
	v_fmac_f32_e32 v101, 0xbf5db3d7, v60
	v_add_f32_e32 v56, v106, v107
	v_mul_f32_e32 v60, v15, v87
	s_waitcnt lgkmcnt(1)
	v_mul_f32_e32 v81, v81, v68
	v_fmac_f32_e32 v85, v19, v84
	v_fmac_f32_e32 v96, v21, v103
	v_fma_f32 v19, v80, v68, -v64
	v_add_f32_e32 v21, v8, v66
	v_mul_f32_e32 v64, v128, v83
	v_mul_f32_e32 v68, v130, v87
	v_mul_f32_e32 v71, 0.5, v52
	v_fmac_f32_e32 v76, -0.5, v73
	v_add_f32_e32 v73, v56, v108
	v_fma_f32 v79, v86, v130, -v60
	v_fmac_f32_e32 v81, v17, v80
	v_add_f32_e32 v17, v85, v96
	v_fma_f32 v80, -0.5, v21, v19
	v_sub_f32_e32 v83, v85, v96
	v_fmac_f32_e32 v64, v13, v82
	v_fmac_f32_e32 v68, v15, v86
	v_fmac_f32_e32 v59, -0.5, v97
	v_fmac_f32_e32 v71, 0x3f5db3d7, v98
	v_sub_f32_e32 v60, v45, v73
	v_add_f32_e32 v62, v75, v79
	v_fma_f32 v13, -0.5, v17, v81
	v_sub_f32_e32 v15, v8, v66
	v_fmamk_f32 v17, v83, 0xbf5db3d7, v80
	v_fmac_f32_e32 v80, 0x3f5db3d7, v83
	v_add_f32_e32 v73, v45, v73
	v_add_f32_e32 v45, v64, v68
	v_mul_f32_e32 v77, 0xbf5db3d7, v52
	v_sub_f32_e32 v41, v58, v59
	v_add_f32_e32 v52, v58, v59
	v_sub_f32_e32 v59, v78, v71
	v_add_f32_e32 v72, v78, v71
	s_waitcnt lgkmcnt(0)
	v_fma_f32 v62, -0.5, v62, v70
	v_sub_f32_e32 v78, v64, v68
	v_fmamk_f32 v82, v15, 0x3f5db3d7, v13
	v_mul_f32_e32 v84, -0.5, v17
	v_fmac_f32_e32 v13, 0xbf5db3d7, v15
	v_mul_f32_e32 v15, 0.5, v80
	v_add_f32_e32 v70, v70, v75
	v_add_f32_e32 v8, v19, v8
	v_fma_f32 v19, -0.5, v45, v11
	v_sub_f32_e32 v45, v75, v79
	v_mul_f32_e32 v17, 0xbf5db3d7, v17
	v_mul_f32_e32 v86, 0xbf5db3d7, v80
	v_add_f32_e32 v11, v11, v64
	v_add_f32_e32 v64, v81, v85
	v_fmac_f32_e32 v77, 0.5, v98
	v_fmamk_f32 v83, v78, 0xbf5db3d7, v62
	v_fmac_f32_e32 v84, 0x3f5db3d7, v82
	v_fmac_f32_e32 v62, 0x3f5db3d7, v78
	;; [unrolled: 1-line block ×3, first 2 shown]
	v_add_f32_e32 v70, v70, v79
	v_add_f32_e32 v8, v8, v66
	v_fmamk_f32 v66, v45, 0x3f5db3d7, v19
	v_fmac_f32_e32 v17, -0.5, v82
	v_fmac_f32_e32 v19, 0xbf5db3d7, v45
	v_fmac_f32_e32 v86, 0.5, v13
	v_add_f32_e32 v45, v64, v96
	s_waitcnt vmcnt(2)
	v_mul_f32_e32 v13, v12, v91
	s_waitcnt vmcnt(0)
	v_mul_f32_e32 v64, v14, v95
	v_sub_f32_e32 v56, v105, v76
	v_sub_f32_e32 v58, v101, v77
	v_add_f32_e32 v21, v105, v76
	v_add_f32_e32 v71, v101, v77
	v_sub_f32_e32 v76, v83, v84
	v_sub_f32_e32 v78, v62, v15
	;; [unrolled: 1-line block ×5, first 2 shown]
	v_add_f32_e32 v82, v83, v84
	v_add_f32_e32 v84, v62, v15
	v_fma_f32 v15, v90, v127, -v13
	v_fma_f32 v62, v94, v129, -v64
	v_add_f32_e32 v13, v70, v8
	v_add_f32_e32 v81, v66, v17
	;; [unrolled: 1-line block ×3, first 2 shown]
	v_mul_f32_e32 v8, v18, v93
	v_mul_f32_e32 v19, v20, v132
	;; [unrolled: 1-line block ×4, first 2 shown]
	v_add_f32_e32 v11, v11, v68
	v_fma_f32 v8, v92, v63, -v8
	v_mul_f32_e32 v63, v16, v89
	v_fma_f32 v19, v131, v65, -v19
	v_mul_f32_e32 v65, v89, v67
	v_fmac_f32_e32 v64, v18, v92
	v_fmac_f32_e32 v66, v20, v131
	v_fma_f32 v18, v88, v67, -v63
	v_add_f32_e32 v20, v8, v19
	v_mul_f32_e32 v67, v129, v95
	v_fmac_f32_e32 v65, v16, v88
	v_add_f32_e32 v16, v64, v66
	v_sub_f32_e32 v68, v64, v66
	v_fma_f32 v20, -0.5, v20, v18
	v_fmac_f32_e32 v67, v14, v94
	v_mul_f32_e32 v63, v127, v91
	v_fma_f32 v14, -0.5, v16, v65
	v_sub_f32_e32 v16, v8, v19
	v_fmamk_f32 v70, v68, 0xbf5db3d7, v20
	v_fmac_f32_e32 v20, 0x3f5db3d7, v68
	v_add_f32_e32 v17, v15, v62
	v_fmac_f32_e32 v63, v12, v90
	v_fmamk_f32 v68, v16, 0x3f5db3d7, v14
	v_fmac_f32_e32 v14, 0xbf5db3d7, v16
	v_add_f32_e32 v16, v69, v15
	v_add_f32_e32 v8, v18, v8
	v_sub_f32_e32 v79, v11, v45
	v_fma_f32 v85, -0.5, v17, v69
	v_sub_f32_e32 v17, v63, v67
	v_add_f32_e32 v18, v16, v62
	v_lshrrev_b32_e32 v16, 3, v102
	v_add_f32_e32 v12, v11, v45
	v_add_f32_e32 v11, v63, v67
	v_mul_f32_e32 v86, -0.5, v70
	v_mul_f32_e32 v45, 0.5, v20
	v_mul_hi_u32 v16, 0x16c16c17, v16
	v_fmamk_f32 v87, v17, 0xbf5db3d7, v85
	v_fmac_f32_e32 v85, 0x3f5db3d7, v17
	v_fma_f32 v69, -0.5, v11, v10
	v_sub_f32_e32 v17, v15, v62
	v_mul_f32_e32 v70, 0xbf5db3d7, v70
	v_mul_f32_e32 v20, 0xbf5db3d7, v20
	v_add_f32_e32 v8, v8, v19
	v_add_f32_e32 v10, v10, v63
	v_fmamk_f32 v62, v17, 0x3f5db3d7, v69
	v_add_f32_e32 v19, v65, v64
	v_fmac_f32_e32 v70, -0.5, v68
	v_fmac_f32_e32 v69, 0xbf5db3d7, v17
	v_fmac_f32_e32 v20, 0.5, v14
	v_lshrrev_b32_e32 v65, 2, v16
	v_fmac_f32_e32 v45, 0x3f5db3d7, v14
	v_add_f32_e32 v64, v10, v67
	v_sub_f32_e32 v17, v18, v8
	v_sub_f32_e32 v10, v62, v70
	;; [unrolled: 1-line block ×3, first 2 shown]
	v_mul_u32_u24_e32 v67, 0x168, v65
	v_add_f32_e32 v65, v18, v8
	v_add_f32_e32 v18, v62, v70
	;; [unrolled: 1-line block ×3, first 2 shown]
	v_add_nc_u32_e32 v20, 60, v102
	v_sub_f32_e32 v15, v85, v45
	v_add_f32_e32 v63, v85, v45
	v_lshlrev_b64 v[45:46], 3, v[46:47]
	v_sub_nc_u32_e32 v8, v102, v67
	v_lshrrev_b32_e32 v47, 3, v20
	v_add_f32_e32 v66, v19, v66
	v_fmac_f32_e32 v86, 0x3f5db3d7, v68
	v_sub_f32_e32 v36, v40, v74
	v_add_co_u32 v45, vcc_lo, s10, v45
	v_mul_hi_u32 v47, 0x16c16c17, v47
	v_add_co_ci_u32_e32 v46, vcc_lo, s11, v46, vcc_lo
	v_lshlrev_b32_e32 v8, 3, v8
	v_add_co_u32 v70, vcc_lo, v45, v4
	v_add_co_ci_u32_e32 v85, vcc_lo, v46, v5, vcc_lo
	v_sub_f32_e32 v16, v64, v66
	v_add_co_u32 v4, vcc_lo, v70, v8
	v_lshrrev_b32_e32 v8, 2, v47
	v_add_co_ci_u32_e32 v5, vcc_lo, 0, v85, vcc_lo
	v_add_co_u32 v45, vcc_lo, 0x800, v4
	v_mul_u32_u24_e32 v47, 0x168, v8
	v_add_co_ci_u32_e32 v46, vcc_lo, 0, v5, vcc_lo
	v_add_f32_e32 v64, v64, v66
	v_add_co_u32 v66, vcc_lo, 0x1000, v4
	v_sub_nc_u32_e32 v20, v20, v47
	v_add_co_ci_u32_e32 v67, vcc_lo, 0, v5, vcc_lo
	v_add_co_u32 v68, vcc_lo, 0x2000, v4
	v_mad_u32_u24 v8, 0x870, v8, v20
	v_add_f32_e32 v19, v87, v86
	v_add_co_ci_u32_e32 v69, vcc_lo, 0, v5, vcc_lo
	global_store_dwordx2 v[4:5], v[64:65], off
	global_store_dwordx2 v[45:46], v[62:63], off offset:832
	global_store_dwordx2 v[66:67], v[18:19], off offset:1664
	;; [unrolled: 1-line block ×3, first 2 shown]
	v_add_co_u32 v16, vcc_lo, 0x2800, v4
	v_lshlrev_b64 v[18:19], 3, v[8:9]
	v_add_co_ci_u32_e32 v17, vcc_lo, 0, v5, vcc_lo
	v_add_co_u32 v4, vcc_lo, 0x3800, v4
	v_add_co_ci_u32_e32 v5, vcc_lo, 0, v5, vcc_lo
	v_add_co_u32 v18, vcc_lo, v70, v18
	v_add_nc_u32_e32 v20, 0x78, v102
	v_sub_f32_e32 v11, v87, v86
	v_add_co_ci_u32_e32 v19, vcc_lo, v85, v19, vcc_lo
	global_store_dwordx2 v[16:17], v[14:15], off offset:1280
	global_store_dwordx2 v[4:5], v[10:11], off offset:64
	global_store_dwordx2 v[18:19], v[12:13], off
	v_lshrrev_b32_e32 v14, 3, v20
	v_add_nc_u32_e32 v45, 0x168, v8
	v_mov_b32_e32 v46, v9
	v_add_nc_u32_e32 v10, 0x2d0, v8
	v_mov_b32_e32 v11, v9
	v_mul_hi_u32 v16, 0x16c16c17, v14
	v_add_nc_u32_e32 v12, 0x438, v8
	v_lshlrev_b64 v[4:5], 3, v[45:46]
	v_mov_b32_e32 v13, v9
	v_lshlrev_b64 v[10:11], 3, v[10:11]
	v_add_nc_u32_e32 v14, 0x5a0, v8
	v_mov_b32_e32 v15, v9
	v_add_nc_u32_e32 v8, 0x708, v8
	v_lshrrev_b32_e32 v18, 2, v16
	v_add_co_u32 v4, vcc_lo, v70, v4
	v_lshlrev_b64 v[12:13], 3, v[12:13]
	v_add_co_ci_u32_e32 v5, vcc_lo, v85, v5, vcc_lo
	v_mul_u32_u24_e32 v16, 0x168, v18
	v_add_co_u32 v10, vcc_lo, v70, v10
	v_lshlrev_b64 v[14:15], 3, v[14:15]
	v_add_co_ci_u32_e32 v11, vcc_lo, v85, v11, vcc_lo
	v_sub_nc_u32_e32 v19, v20, v16
	v_add_co_u32 v12, vcc_lo, v70, v12
	v_add_co_ci_u32_e32 v13, vcc_lo, v85, v13, vcc_lo
	v_lshlrev_b64 v[16:17], 3, v[8:9]
	v_mad_u32_u24 v8, 0x870, v18, v19
	v_add_co_u32 v14, vcc_lo, v70, v14
	v_add_nc_u32_e32 v18, 0xb4, v102
	v_add_co_ci_u32_e32 v15, vcc_lo, v85, v15, vcc_lo
	global_store_dwordx2 v[4:5], v[83:84], off
	global_store_dwordx2 v[10:11], v[81:82], off
	;; [unrolled: 1-line block ×4, first 2 shown]
	v_add_nc_u32_e32 v10, 0x168, v8
	v_mov_b32_e32 v11, v9
	v_add_co_u32 v12, vcc_lo, v70, v16
	v_lshrrev_b32_e32 v16, 3, v18
	v_lshlrev_b64 v[4:5], 3, v[8:9]
	v_lshlrev_b64 v[10:11], 3, v[10:11]
	v_add_co_ci_u32_e32 v13, vcc_lo, v85, v17, vcc_lo
	v_mul_hi_u32 v19, 0x16c16c17, v16
	v_add_nc_u32_e32 v14, 0x2d0, v8
	v_add_co_u32 v4, vcc_lo, v70, v4
	v_mov_b32_e32 v15, v9
	v_add_co_ci_u32_e32 v5, vcc_lo, v85, v5, vcc_lo
	v_add_co_u32 v10, vcc_lo, v70, v10
	v_add_f32_e32 v40, v40, v74
	v_add_f32_e32 v74, v99, v100
	v_add_nc_u32_e32 v16, 0x438, v8
	v_mov_b32_e32 v17, v9
	v_add_co_ci_u32_e32 v11, vcc_lo, v85, v11, vcc_lo
	global_store_dwordx2 v[12:13], v[75:76], off
	v_lshlrev_b64 v[12:13], 3, v[14:15]
	v_lshrrev_b32_e32 v14, 2, v19
	global_store_dwordx2 v[4:5], v[73:74], off
	global_store_dwordx2 v[10:11], v[71:72], off
	v_lshlrev_b64 v[4:5], 3, v[16:17]
	v_sub_f32_e32 v61, v99, v100
	v_add_nc_u32_e32 v16, 0xf0, v102
	v_add_co_u32 v10, vcc_lo, v70, v12
	v_mul_u32_u24_e32 v15, 0x168, v14
	v_add_co_ci_u32_e32 v11, vcc_lo, v85, v13, vcc_lo
	v_add_nc_u32_e32 v12, 0x5a0, v8
	v_mov_b32_e32 v13, v9
	v_add_co_u32 v4, vcc_lo, v70, v4
	v_add_nc_u32_e32 v8, 0x708, v8
	v_sub_nc_u32_e32 v15, v18, v15
	v_add_co_ci_u32_e32 v5, vcc_lo, v85, v5, vcc_lo
	v_lshlrev_b64 v[12:13], 3, v[12:13]
	global_store_dwordx2 v[10:11], v[21:22], off
	global_store_dwordx2 v[4:5], v[60:61], off
	v_lshlrev_b64 v[4:5], 3, v[8:9]
	v_mad_u32_u24 v8, 0x870, v14, v15
	v_mov_b32_e32 v15, v9
	v_add_co_u32 v10, vcc_lo, v70, v12
	v_add_co_ci_u32_e32 v11, vcc_lo, v85, v13, vcc_lo
	v_lshlrev_b64 v[12:13], 3, v[8:9]
	v_add_co_u32 v4, vcc_lo, v70, v4
	v_add_co_ci_u32_e32 v5, vcc_lo, v85, v5, vcc_lo
	v_add_nc_u32_e32 v14, 0x168, v8
	v_add_co_u32 v12, vcc_lo, v70, v12
	v_add_co_ci_u32_e32 v13, vcc_lo, v85, v13, vcc_lo
	global_store_dwordx2 v[10:11], v[58:59], off
	global_store_dwordx2 v[4:5], v[56:57], off
	;; [unrolled: 1-line block ×3, first 2 shown]
	v_lshlrev_b64 v[4:5], 3, v[14:15]
	v_lshrrev_b32_e32 v14, 3, v16
	v_add_nc_u32_e32 v10, 0x2d0, v8
	v_mov_b32_e32 v11, v9
	v_add_nc_u32_e32 v12, 0x438, v8
	v_mov_b32_e32 v13, v9
	v_mul_hi_u32 v17, 0x16c16c17, v14
	v_add_nc_u32_e32 v14, 0x5a0, v8
	v_lshlrev_b64 v[10:11], 3, v[10:11]
	v_add_co_u32 v4, vcc_lo, v70, v4
	v_lshlrev_b64 v[12:13], 3, v[12:13]
	v_add_co_ci_u32_e32 v5, vcc_lo, v85, v5, vcc_lo
	v_lshrrev_b32_e32 v18, 2, v17
	v_add_co_u32 v10, vcc_lo, v70, v10
	v_lshlrev_b64 v[14:15], 3, v[14:15]
	v_add_nc_u32_e32 v8, 0x708, v8
	v_mul_u32_u24_e32 v17, 0x168, v18
	v_add_co_ci_u32_e32 v11, vcc_lo, v85, v11, vcc_lo
	v_add_co_u32 v12, vcc_lo, v70, v12
	v_sub_nc_u32_e32 v19, v16, v17
	v_add_co_ci_u32_e32 v13, vcc_lo, v85, v13, vcc_lo
	v_lshlrev_b64 v[16:17], 3, v[8:9]
	v_add_co_u32 v14, vcc_lo, v70, v14
	v_mad_u32_u24 v8, 0x870, v18, v19
	v_add_nc_u32_e32 v18, 0x12c, v102
	v_add_co_ci_u32_e32 v15, vcc_lo, v85, v15, vcc_lo
	global_store_dwordx2 v[4:5], v[54:55], off
	global_store_dwordx2 v[10:11], v[52:53], off
	;; [unrolled: 1-line block ×4, first 2 shown]
	v_add_nc_u32_e32 v10, 0x168, v8
	v_mov_b32_e32 v11, v9
	v_add_co_u32 v12, vcc_lo, v70, v16
	v_lshrrev_b32_e32 v16, 3, v18
	v_lshlrev_b64 v[4:5], 3, v[8:9]
	v_lshlrev_b64 v[10:11], 3, v[10:11]
	v_add_co_ci_u32_e32 v13, vcc_lo, v85, v17, vcc_lo
	v_mul_hi_u32 v19, 0x16c16c17, v16
	v_add_nc_u32_e32 v14, 0x2d0, v8
	v_add_co_u32 v4, vcc_lo, v70, v4
	v_mov_b32_e32 v15, v9
	v_add_co_ci_u32_e32 v5, vcc_lo, v85, v5, vcc_lo
	v_add_co_u32 v10, vcc_lo, v70, v10
	v_add_nc_u32_e32 v16, 0x438, v8
	v_mov_b32_e32 v17, v9
	v_add_co_ci_u32_e32 v11, vcc_lo, v85, v11, vcc_lo
	global_store_dwordx2 v[12:13], v[41:42], off
	v_lshlrev_b64 v[12:13], 3, v[14:15]
	v_lshrrev_b32_e32 v14, 2, v19
	global_store_dwordx2 v[4:5], v[31:32], off
	global_store_dwordx2 v[10:11], v[39:40], off
	v_lshlrev_b64 v[4:5], 3, v[16:17]
	v_add_co_u32 v10, vcc_lo, v70, v12
	v_mul_u32_u24_e32 v15, 0x168, v14
	v_add_co_ci_u32_e32 v11, vcc_lo, v85, v13, vcc_lo
	v_add_nc_u32_e32 v12, 0x5a0, v8
	v_mov_b32_e32 v13, v9
	v_add_co_u32 v4, vcc_lo, v70, v4
	v_add_nc_u32_e32 v8, 0x708, v8
	v_sub_nc_u32_e32 v15, v18, v15
	v_add_co_ci_u32_e32 v5, vcc_lo, v85, v5, vcc_lo
	v_lshlrev_b64 v[12:13], 3, v[12:13]
	global_store_dwordx2 v[10:11], v[37:38], off
	global_store_dwordx2 v[4:5], v[29:30], off
	v_lshlrev_b64 v[4:5], 3, v[8:9]
	v_mad_u32_u24 v8, 0x870, v14, v15
	v_mov_b32_e32 v15, v9
	v_add_co_u32 v10, vcc_lo, v70, v12
	v_add_co_ci_u32_e32 v11, vcc_lo, v85, v13, vcc_lo
	v_lshlrev_b64 v[12:13], 3, v[8:9]
	v_add_co_u32 v4, vcc_lo, v70, v4
	v_add_co_ci_u32_e32 v5, vcc_lo, v85, v5, vcc_lo
	v_add_nc_u32_e32 v14, 0x168, v8
	v_add_co_u32 v12, vcc_lo, v70, v12
	v_add_co_ci_u32_e32 v13, vcc_lo, v85, v13, vcc_lo
	v_add_nc_u32_e32 v16, 0x2d0, v8
	global_store_dwordx2 v[10:11], v[35:36], off
	global_store_dwordx2 v[4:5], v[33:34], off
	v_lshlrev_b64 v[4:5], 3, v[14:15]
	v_add_nc_u32_e32 v10, 0x438, v8
	v_mov_b32_e32 v11, v9
	global_store_dwordx2 v[12:13], v[2:3], off
	v_lshlrev_b64 v[2:3], 3, v[16:17]
	v_add_nc_u32_e32 v12, 0x5a0, v8
	v_mov_b32_e32 v13, v9
	v_add_co_u32 v4, vcc_lo, v70, v4
	v_lshlrev_b64 v[10:11], 3, v[10:11]
	v_add_nc_u32_e32 v8, 0x708, v8
	v_add_co_ci_u32_e32 v5, vcc_lo, v85, v5, vcc_lo
	v_add_co_u32 v2, vcc_lo, v70, v2
	v_lshlrev_b64 v[12:13], 3, v[12:13]
	v_add_co_ci_u32_e32 v3, vcc_lo, v85, v3, vcc_lo
	v_add_co_u32 v10, vcc_lo, v70, v10
	v_lshlrev_b64 v[8:9], 3, v[8:9]
	v_add_co_ci_u32_e32 v11, vcc_lo, v85, v11, vcc_lo
	v_add_co_u32 v12, vcc_lo, v70, v12
	v_add_co_ci_u32_e32 v13, vcc_lo, v85, v13, vcc_lo
	v_add_co_u32 v8, vcc_lo, v70, v8
	v_add_co_ci_u32_e32 v9, vcc_lo, v85, v9, vcc_lo
	global_store_dwordx2 v[4:5], v[27:28], off
	global_store_dwordx2 v[2:3], v[25:26], off
	;; [unrolled: 1-line block ×5, first 2 shown]
.LBB0_21:
	s_endpgm
	.section	.rodata,"a",@progbits
	.p2align	6, 0x0
	.amdhsa_kernel fft_rtc_back_len2160_factors_10_6_6_6_wgs_60_tpt_60_halfLds_sp_op_CI_CI_unitstride_sbrr_dirReg
		.amdhsa_group_segment_fixed_size 0
		.amdhsa_private_segment_fixed_size 0
		.amdhsa_kernarg_size 104
		.amdhsa_user_sgpr_count 6
		.amdhsa_user_sgpr_private_segment_buffer 1
		.amdhsa_user_sgpr_dispatch_ptr 0
		.amdhsa_user_sgpr_queue_ptr 0
		.amdhsa_user_sgpr_kernarg_segment_ptr 1
		.amdhsa_user_sgpr_dispatch_id 0
		.amdhsa_user_sgpr_flat_scratch_init 0
		.amdhsa_user_sgpr_private_segment_size 0
		.amdhsa_wavefront_size32 1
		.amdhsa_uses_dynamic_stack 0
		.amdhsa_system_sgpr_private_segment_wavefront_offset 0
		.amdhsa_system_sgpr_workgroup_id_x 1
		.amdhsa_system_sgpr_workgroup_id_y 0
		.amdhsa_system_sgpr_workgroup_id_z 0
		.amdhsa_system_sgpr_workgroup_info 0
		.amdhsa_system_vgpr_workitem_id 0
		.amdhsa_next_free_vgpr 149
		.amdhsa_next_free_sgpr 27
		.amdhsa_reserve_vcc 1
		.amdhsa_reserve_flat_scratch 0
		.amdhsa_float_round_mode_32 0
		.amdhsa_float_round_mode_16_64 0
		.amdhsa_float_denorm_mode_32 3
		.amdhsa_float_denorm_mode_16_64 3
		.amdhsa_dx10_clamp 1
		.amdhsa_ieee_mode 1
		.amdhsa_fp16_overflow 0
		.amdhsa_workgroup_processor_mode 1
		.amdhsa_memory_ordered 1
		.amdhsa_forward_progress 0
		.amdhsa_shared_vgpr_count 0
		.amdhsa_exception_fp_ieee_invalid_op 0
		.amdhsa_exception_fp_denorm_src 0
		.amdhsa_exception_fp_ieee_div_zero 0
		.amdhsa_exception_fp_ieee_overflow 0
		.amdhsa_exception_fp_ieee_underflow 0
		.amdhsa_exception_fp_ieee_inexact 0
		.amdhsa_exception_int_div_zero 0
	.end_amdhsa_kernel
	.text
.Lfunc_end0:
	.size	fft_rtc_back_len2160_factors_10_6_6_6_wgs_60_tpt_60_halfLds_sp_op_CI_CI_unitstride_sbrr_dirReg, .Lfunc_end0-fft_rtc_back_len2160_factors_10_6_6_6_wgs_60_tpt_60_halfLds_sp_op_CI_CI_unitstride_sbrr_dirReg
                                        ; -- End function
	.section	.AMDGPU.csdata,"",@progbits
; Kernel info:
; codeLenInByte = 17336
; NumSgprs: 29
; NumVgprs: 149
; ScratchSize: 0
; MemoryBound: 0
; FloatMode: 240
; IeeeMode: 1
; LDSByteSize: 0 bytes/workgroup (compile time only)
; SGPRBlocks: 3
; VGPRBlocks: 18
; NumSGPRsForWavesPerEU: 29
; NumVGPRsForWavesPerEU: 149
; Occupancy: 6
; WaveLimiterHint : 1
; COMPUTE_PGM_RSRC2:SCRATCH_EN: 0
; COMPUTE_PGM_RSRC2:USER_SGPR: 6
; COMPUTE_PGM_RSRC2:TRAP_HANDLER: 0
; COMPUTE_PGM_RSRC2:TGID_X_EN: 1
; COMPUTE_PGM_RSRC2:TGID_Y_EN: 0
; COMPUTE_PGM_RSRC2:TGID_Z_EN: 0
; COMPUTE_PGM_RSRC2:TIDIG_COMP_CNT: 0
	.text
	.p2alignl 6, 3214868480
	.fill 48, 4, 3214868480
	.type	__hip_cuid_5cde565b60b91404,@object ; @__hip_cuid_5cde565b60b91404
	.section	.bss,"aw",@nobits
	.globl	__hip_cuid_5cde565b60b91404
__hip_cuid_5cde565b60b91404:
	.byte	0                               ; 0x0
	.size	__hip_cuid_5cde565b60b91404, 1

	.ident	"AMD clang version 19.0.0git (https://github.com/RadeonOpenCompute/llvm-project roc-6.4.0 25133 c7fe45cf4b819c5991fe208aaa96edf142730f1d)"
	.section	".note.GNU-stack","",@progbits
	.addrsig
	.addrsig_sym __hip_cuid_5cde565b60b91404
	.amdgpu_metadata
---
amdhsa.kernels:
  - .args:
      - .actual_access:  read_only
        .address_space:  global
        .offset:         0
        .size:           8
        .value_kind:     global_buffer
      - .offset:         8
        .size:           8
        .value_kind:     by_value
      - .actual_access:  read_only
        .address_space:  global
        .offset:         16
        .size:           8
        .value_kind:     global_buffer
      - .actual_access:  read_only
        .address_space:  global
        .offset:         24
        .size:           8
        .value_kind:     global_buffer
      - .actual_access:  read_only
        .address_space:  global
        .offset:         32
        .size:           8
        .value_kind:     global_buffer
      - .offset:         40
        .size:           8
        .value_kind:     by_value
      - .actual_access:  read_only
        .address_space:  global
        .offset:         48
        .size:           8
        .value_kind:     global_buffer
      - .actual_access:  read_only
        .address_space:  global
        .offset:         56
        .size:           8
        .value_kind:     global_buffer
      - .offset:         64
        .size:           4
        .value_kind:     by_value
      - .actual_access:  read_only
        .address_space:  global
        .offset:         72
        .size:           8
        .value_kind:     global_buffer
      - .actual_access:  read_only
        .address_space:  global
        .offset:         80
        .size:           8
        .value_kind:     global_buffer
      - .actual_access:  read_only
        .address_space:  global
        .offset:         88
        .size:           8
        .value_kind:     global_buffer
      - .actual_access:  write_only
        .address_space:  global
        .offset:         96
        .size:           8
        .value_kind:     global_buffer
    .group_segment_fixed_size: 0
    .kernarg_segment_align: 8
    .kernarg_segment_size: 104
    .language:       OpenCL C
    .language_version:
      - 2
      - 0
    .max_flat_workgroup_size: 60
    .name:           fft_rtc_back_len2160_factors_10_6_6_6_wgs_60_tpt_60_halfLds_sp_op_CI_CI_unitstride_sbrr_dirReg
    .private_segment_fixed_size: 0
    .sgpr_count:     29
    .sgpr_spill_count: 0
    .symbol:         fft_rtc_back_len2160_factors_10_6_6_6_wgs_60_tpt_60_halfLds_sp_op_CI_CI_unitstride_sbrr_dirReg.kd
    .uniform_work_group_size: 1
    .uses_dynamic_stack: false
    .vgpr_count:     149
    .vgpr_spill_count: 0
    .wavefront_size: 32
    .workgroup_processor_mode: 1
amdhsa.target:   amdgcn-amd-amdhsa--gfx1030
amdhsa.version:
  - 1
  - 2
...

	.end_amdgpu_metadata
